;; amdgpu-corpus repo=ROCm/vllm kind=compiled arch=gfx1201 opt=O3
	.amdgcn_target "amdgcn-amd-amdhsa--gfx1201"
	.amdhsa_code_object_version 6
	.section	.text._ZN4vllm32rms_norm_static_fp8_quant_kernelIfN3c1013Float8_e4m3fnEEEvPT0_PKT_iS7_PKffii,"axG",@progbits,_ZN4vllm32rms_norm_static_fp8_quant_kernelIfN3c1013Float8_e4m3fnEEEvPT0_PKT_iS7_PKffii,comdat
	.protected	_ZN4vllm32rms_norm_static_fp8_quant_kernelIfN3c1013Float8_e4m3fnEEEvPT0_PKT_iS7_PKffii ; -- Begin function _ZN4vllm32rms_norm_static_fp8_quant_kernelIfN3c1013Float8_e4m3fnEEEvPT0_PKT_iS7_PKffii
	.globl	_ZN4vllm32rms_norm_static_fp8_quant_kernelIfN3c1013Float8_e4m3fnEEEvPT0_PKT_iS7_PKffii
	.p2align	8
	.type	_ZN4vllm32rms_norm_static_fp8_quant_kernelIfN3c1013Float8_e4m3fnEEEvPT0_PKT_iS7_PKffii,@function
_ZN4vllm32rms_norm_static_fp8_quant_kernelIfN3c1013Float8_e4m3fnEEEvPT0_PKT_iS7_PKffii: ; @_ZN4vllm32rms_norm_static_fp8_quant_kernelIfN3c1013Float8_e4m3fnEEEvPT0_PKT_iS7_PKffii
; %bb.0:
	s_clause 0x1
	s_load_b32 s12, s[0:1], 0x30
	s_load_b64 s[8:9], s[0:1], 0x8
	s_mov_b32 s3, exec_lo
                                        ; implicit-def: $sgpr14
                                        ; implicit-def: $sgpr15
	s_wait_kmcnt 0x0
	v_cmp_gt_i32_e64 s2, s12, v0
	v_cmpx_le_i32_e64 s12, v0
	s_xor_b32 s3, exec_lo, s3
	s_cbranch_execz .LBB0_2
; %bb.1:
	s_load_b32 s4, s[0:1], 0x44
	s_mov_b32 s14, ttmp9
	s_wait_kmcnt 0x0
	s_and_b32 s15, s4, 0xffff
.LBB0_2:
	s_or_saveexec_b32 s3, s3
	s_clause 0x2
	s_load_b128 s[4:7], s[0:1], 0x18
	s_load_b64 s[10:11], s[0:1], 0x0
	s_load_b32 s13, s[0:1], 0x10
	v_dual_mov_b32 v3, 0 :: v_dual_mov_b32 v4, s15
	v_mov_b32_e32 v1, s14
	s_xor_b32 exec_lo, exec_lo, s3
	s_cbranch_execz .LBB0_6
; %bb.3:
	s_load_b32 s14, s[0:1], 0x44
	v_dual_mov_b32 v2, 0 :: v_dual_mov_b32 v3, 0
	v_mov_b32_e32 v4, v0
	s_wait_kmcnt 0x0
	s_mul_i32 s15, s13, ttmp9
	s_mov_b32 s16, 0
	s_and_b32 s14, s14, 0xffff
.LBB0_4:                                ; =>This Inner Loop Header: Depth=1
	s_wait_alu 0xfffe
	v_add_nc_u32_e32 v1, s15, v4
	s_delay_alu instid0(VALU_DEP_1) | instskip(NEXT) | instid1(VALU_DEP_1)
	v_lshlrev_b64_e32 v[5:6], 2, v[1:2]
	v_add_co_u32 v5, vcc_lo, s8, v5
	s_wait_alu 0xfffd
	s_delay_alu instid0(VALU_DEP_2) | instskip(SKIP_3) | instid1(VALU_DEP_1)
	v_add_co_ci_u32_e64 v6, null, s9, v6, vcc_lo
	global_load_b32 v1, v[5:6], off
	s_wait_loadcnt 0x0
	v_dual_fmac_f32 v3, v1, v1 :: v_dual_add_nc_u32 v4, s14, v4
	v_cmp_le_i32_e32 vcc_lo, s12, v4
	s_or_b32 s16, vcc_lo, s16
	s_delay_alu instid0(SALU_CYCLE_1)
	s_and_not1_b32 exec_lo, exec_lo, s16
	s_cbranch_execnz .LBB0_4
; %bb.5:
	s_or_b32 exec_lo, exec_lo, s16
	v_dual_mov_b32 v1, ttmp9 :: v_dual_mov_b32 v4, s14
.LBB0_6:
	s_or_b32 exec_lo, exec_lo, s3
	v_mbcnt_lo_u32_b32 v2, -1, 0
	s_mov_b32 s3, exec_lo
	s_delay_alu instid0(VALU_DEP_1) | instskip(SKIP_3) | instid1(VALU_DEP_2)
	v_cmp_ne_u32_e32 vcc_lo, 63, v2
	s_wait_alu 0xfffd
	v_add_co_ci_u32_e64 v5, null, 0, v2, vcc_lo
	v_cmp_gt_u32_e32 vcc_lo, 62, v2
	v_lshlrev_b32_e32 v5, 2, v5
	s_wait_alu 0xfffd
	v_cndmask_b32_e64 v7, 0, 2, vcc_lo
	ds_bpermute_b32 v5, v5, v3
	v_and_b32_e32 v6, 0x3c0, v0
	v_add_lshl_u32 v7, v7, v2, 2
	s_wait_dscnt 0x0
	v_add_f32_e32 v5, v3, v5
	s_delay_alu instid0(VALU_DEP_3) | instskip(SKIP_1) | instid1(VALU_DEP_1)
	v_sub_nc_u32_e64 v6, v4, v6 clamp
	v_add_nc_u32_e32 v8, 1, v2
	v_cmp_lt_u32_e32 vcc_lo, v8, v6
	s_wait_alu 0xfffd
	v_cndmask_b32_e32 v3, v3, v5, vcc_lo
	v_cmp_gt_u32_e32 vcc_lo, 60, v2
	ds_bpermute_b32 v5, v7, v3
	v_add_nc_u32_e32 v8, 2, v2
	s_wait_alu 0xfffd
	v_cndmask_b32_e64 v7, 0, 4, vcc_lo
	s_delay_alu instid0(VALU_DEP_1) | instskip(SKIP_4) | instid1(VALU_DEP_2)
	v_add_lshl_u32 v7, v7, v2, 2
	s_wait_dscnt 0x0
	v_add_f32_e32 v5, v3, v5
	v_cmp_lt_u32_e32 vcc_lo, v8, v6
	s_wait_alu 0xfffd
	v_dual_cndmask_b32 v3, v3, v5 :: v_dual_add_nc_u32 v8, 4, v2
	v_cmp_gt_u32_e32 vcc_lo, 56, v2
	ds_bpermute_b32 v5, v7, v3
	s_wait_alu 0xfffd
	v_cndmask_b32_e64 v7, 0, 8, vcc_lo
	v_cmp_lt_u32_e32 vcc_lo, v8, v6
	v_add_nc_u32_e32 v8, 8, v2
	s_delay_alu instid0(VALU_DEP_3) | instskip(SKIP_3) | instid1(VALU_DEP_1)
	v_add_lshl_u32 v7, v7, v2, 2
	s_wait_dscnt 0x0
	v_add_f32_e32 v5, v3, v5
	s_wait_alu 0xfffd
	v_cndmask_b32_e32 v3, v3, v5, vcc_lo
	v_cmp_gt_u32_e32 vcc_lo, 48, v2
	ds_bpermute_b32 v5, v7, v3
	s_wait_alu 0xfffd
	v_cndmask_b32_e64 v7, 0, 16, vcc_lo
	v_cmp_lt_u32_e32 vcc_lo, v8, v6
	s_delay_alu instid0(VALU_DEP_2) | instskip(SKIP_3) | instid1(VALU_DEP_1)
	v_add_lshl_u32 v7, v7, v2, 2
	s_wait_dscnt 0x0
	v_add_f32_e32 v5, v3, v5
	s_wait_alu 0xfffd
	v_cndmask_b32_e32 v5, v3, v5, vcc_lo
	ds_bpermute_b32 v3, v7, v5
	s_wait_dscnt 0x0
	v_dual_add_f32 v8, v5, v3 :: v_dual_add_nc_u32 v7, 16, v2
	s_delay_alu instid0(VALU_DEP_1) | instskip(SKIP_2) | instid1(VALU_DEP_3)
	v_cmp_lt_u32_e32 vcc_lo, v7, v6
	v_lshlrev_b32_e32 v3, 2, v2
	s_wait_alu 0xfffd
	v_cndmask_b32_e32 v5, v5, v8, vcc_lo
	v_or_b32_e32 v8, 32, v2
	ds_bpermute_b32 v7, v3, v5 offset:128
	v_cmp_lt_u32_e32 vcc_lo, v8, v6
	s_wait_dscnt 0x0
	v_add_f32_e32 v7, v5, v7
	s_wait_alu 0xfffd
	s_delay_alu instid0(VALU_DEP_1)
	v_cndmask_b32_e32 v5, v5, v7, vcc_lo
	v_cmpx_eq_u32_e32 0, v2
; %bb.7:
	v_lshrrev_b32_e32 v6, 4, v0
	s_delay_alu instid0(VALU_DEP_1)
	v_and_b32_e32 v6, 60, v6
	ds_store_b32 v6, v5
; %bb.8:
	s_or_b32 exec_lo, exec_lo, s3
	s_delay_alu instid0(SALU_CYCLE_1)
	s_mov_b32 s14, exec_lo
	s_wait_dscnt 0x0
	s_barrier_signal -1
	s_barrier_wait -1
	global_inv scope:SCOPE_SE
	v_cmpx_gt_u32_e32 16, v0
	s_cbranch_execz .LBB0_10
; %bb.9:
	ds_load_b32 v5, v3
	v_and_b32_e32 v6, 15, v2
	v_or_b32_e32 v3, 32, v3
	s_delay_alu instid0(VALU_DEP_2) | instskip(SKIP_2) | instid1(VALU_DEP_1)
	v_cmp_ne_u32_e32 vcc_lo, 15, v6
	s_wait_alu 0xfffd
	v_add_co_ci_u32_e64 v7, null, 0, v2, vcc_lo
	v_lshlrev_b32_e32 v7, 2, v7
	s_wait_dscnt 0x0
	ds_bpermute_b32 v7, v7, v5
	s_wait_dscnt 0x0
	v_dual_add_f32 v7, v5, v7 :: v_dual_add_nc_u32 v8, 63, v4
	v_cmp_gt_u32_e32 vcc_lo, 14, v6
	v_add_nc_u32_e32 v10, 1, v6
	v_cmp_gt_u32_e64 s3, 12, v6
	v_add_nc_u32_e32 v11, 2, v6
	v_lshrrev_b32_e32 v8, 6, v8
	s_wait_alu 0xfffd
	v_cndmask_b32_e64 v9, 0, 2, vcc_lo
	s_delay_alu instid0(VALU_DEP_2) | instskip(NEXT) | instid1(VALU_DEP_2)
	v_cmp_lt_u32_e32 vcc_lo, v10, v8
	v_add_lshl_u32 v9, v9, v2, 2
	v_cndmask_b32_e64 v10, 0, 4, s3
	v_cmp_lt_u32_e64 s3, v11, v8
	s_wait_alu 0xfffd
	v_cndmask_b32_e32 v7, v5, v7, vcc_lo
	s_delay_alu instid0(VALU_DEP_3) | instskip(SKIP_4) | instid1(VALU_DEP_1)
	v_add_lshl_u32 v2, v10, v2, 2
	ds_bpermute_b32 v9, v9, v7
	s_wait_dscnt 0x0
	v_add_f32_e32 v9, v7, v9
	s_wait_alu 0xf1ff
	v_cndmask_b32_e64 v7, v7, v9, s3
	v_add_nc_u32_e32 v9, 4, v6
	ds_bpermute_b32 v2, v2, v7
	v_cmp_lt_u32_e64 s3, v9, v8
	s_wait_dscnt 0x0
	v_add_f32_e32 v2, v7, v2
	s_wait_alu 0xf1ff
	s_delay_alu instid0(VALU_DEP_1) | instskip(SKIP_3) | instid1(VALU_DEP_1)
	v_cndmask_b32_e64 v2, v7, v2, s3
	ds_bpermute_b32 v3, v3, v2
	s_wait_dscnt 0x0
	v_dual_add_f32 v3, v2, v3 :: v_dual_add_nc_u32 v6, 8, v6
	v_cmp_lt_u32_e64 s3, v6, v8
	s_wait_alu 0xf1ff
	s_delay_alu instid0(VALU_DEP_1) | instskip(NEXT) | instid1(VALU_DEP_1)
	v_cndmask_b32_e64 v2, v2, v3, s3
	v_cndmask_b32_e32 v5, v5, v2, vcc_lo
.LBB0_10:
	s_wait_alu 0xfffe
	s_or_b32 exec_lo, exec_lo, s14
	s_delay_alu instid0(SALU_CYCLE_1)
	s_mov_b32 s3, exec_lo
	v_cmpx_eq_u32_e32 0, v0
	s_cbranch_execz .LBB0_12
; %bb.11:
	s_cvt_f32_i32 s14, s12
	s_load_b32 s0, s[0:1], 0x28
	s_delay_alu instid0(SALU_CYCLE_2) | instskip(SKIP_1) | instid1(VALU_DEP_2)
	v_div_scale_f32 v2, null, s14, s14, v5
	v_div_scale_f32 v7, vcc_lo, v5, s14, v5
	v_rcp_f32_e32 v3, v2
	s_delay_alu instid0(TRANS32_DEP_1) | instskip(NEXT) | instid1(VALU_DEP_1)
	v_fma_f32 v6, -v2, v3, 1.0
	v_fmac_f32_e32 v3, v6, v3
	s_delay_alu instid0(VALU_DEP_1) | instskip(NEXT) | instid1(VALU_DEP_1)
	v_mul_f32_e32 v6, v7, v3
	v_fma_f32 v8, -v2, v6, v7
	s_delay_alu instid0(VALU_DEP_1) | instskip(NEXT) | instid1(VALU_DEP_1)
	v_fmac_f32_e32 v6, v8, v3
	v_fma_f32 v2, -v2, v6, v7
	s_wait_alu 0xfffd
	s_delay_alu instid0(VALU_DEP_1) | instskip(NEXT) | instid1(VALU_DEP_1)
	v_div_fmas_f32 v2, v2, v3, v6
	v_div_fixup_f32 v2, v2, s14, v5
	s_wait_kmcnt 0x0
	s_delay_alu instid0(VALU_DEP_1) | instskip(NEXT) | instid1(VALU_DEP_1)
	v_add_f32_e32 v2, s0, v2
	v_mul_f32_e32 v3, 0x4b800000, v2
	v_cmp_gt_f32_e32 vcc_lo, 0x800000, v2
	s_wait_alu 0xfffd
	s_delay_alu instid0(VALU_DEP_2) | instskip(NEXT) | instid1(VALU_DEP_1)
	v_cndmask_b32_e32 v2, v2, v3, vcc_lo
	v_rsq_f32_e32 v2, v2
	s_delay_alu instid0(TRANS32_DEP_1) | instskip(NEXT) | instid1(VALU_DEP_1)
	v_mul_f32_e32 v3, 0x45800000, v2
	v_dual_cndmask_b32 v2, v2, v3 :: v_dual_mov_b32 v3, 0
	ds_store_b32 v3, v2 offset:64
.LBB0_12:
	s_wait_alu 0xfffe
	s_or_b32 exec_lo, exec_lo, s3
	s_wait_loadcnt_dscnt 0x0
	s_barrier_signal -1
	s_barrier_wait -1
	global_inv scope:SCOPE_SE
	s_and_saveexec_b32 s0, s2
	s_cbranch_execz .LBB0_15
; %bb.13:
	s_wait_kmcnt 0x0
	s_load_b32 s0, s[6:7], 0x0
	s_mov_b32 s1, 0x43e00000
	s_wait_kmcnt 0x0
	v_div_scale_f32 v2, null, s0, s0, 1.0
	v_div_scale_f32 v7, vcc_lo, 1.0, s0, 1.0
	s_delay_alu instid0(VALU_DEP_2)
	v_rcp_f32_e32 v6, v2
	v_xor_b32_e32 v2, 0x80000000, v2
	s_delay_alu instid0(TRANS32_DEP_1) | instid1(VALU_DEP_1)
	v_fma_f32 v3, v2, v6, 1.0
	s_delay_alu instid0(VALU_DEP_1) | instskip(NEXT) | instid1(VALU_DEP_1)
	v_dual_fmac_f32 v6, v3, v6 :: v_dual_mov_b32 v3, 0
	v_mul_f32_e32 v8, v7, v6
	s_delay_alu instid0(VALU_DEP_1) | instskip(NEXT) | instid1(VALU_DEP_1)
	v_fma_f32 v5, v2, v8, v7
	v_fmac_f32_e32 v8, v5, v6
	ds_load_b32 v5, v3 offset:64
	v_fmac_f32_e32 v7, v2, v8
	s_wait_alu 0xfffd
	s_delay_alu instid0(VALU_DEP_1) | instskip(SKIP_2) | instid1(VALU_DEP_3)
	v_div_fmas_f32 v2, v7, v6, v8
	v_mul_lo_u32 v6, s13, v1
	v_mul_lo_u32 v7, s12, v1
	v_div_fixup_f32 v8, v2, s0, 1.0
	s_mov_b32 s0, 0
.LBB0_14:                               ; =>This Inner Loop Header: Depth=1
	s_delay_alu instid0(VALU_DEP_3) | instskip(SKIP_1) | instid1(VALU_DEP_2)
	v_add_nc_u32_e32 v2, v6, v0
	v_ashrrev_i32_e32 v1, 31, v0
	v_lshlrev_b64_e32 v[9:10], 2, v[2:3]
	s_delay_alu instid0(VALU_DEP_2) | instskip(NEXT) | instid1(VALU_DEP_2)
	v_lshlrev_b64_e32 v[1:2], 2, v[0:1]
	v_add_co_u32 v9, vcc_lo, s8, v9
	s_wait_alu 0xfffd
	s_delay_alu instid0(VALU_DEP_3) | instskip(NEXT) | instid1(VALU_DEP_3)
	v_add_co_ci_u32_e64 v10, null, s9, v10, vcc_lo
	v_add_co_u32 v1, vcc_lo, s4, v1
	s_wait_alu 0xfffd
	v_add_co_ci_u32_e64 v2, null, s5, v2, vcc_lo
	global_load_b32 v9, v[9:10], off
	global_load_b32 v1, v[1:2], off
	v_add_nc_u32_e32 v10, v7, v0
	s_wait_loadcnt_dscnt 0x100
	v_dual_mul_f32 v2, v9, v5 :: v_dual_mov_b32 v9, v3
	s_wait_loadcnt 0x0
	s_delay_alu instid0(VALU_DEP_1) | instskip(NEXT) | instid1(VALU_DEP_1)
	v_mul_f32_e32 v1, v2, v1
	v_mul_f32_e32 v1, v8, v1
	s_wait_alu 0xfffe
	s_delay_alu instid0(VALU_DEP_1) | instskip(NEXT) | instid1(VALU_DEP_1)
	v_minmax_num_f32 v1, v1, s1, 0xc3e00000
	v_med3_num_f32 v2, v1, s1, 0xc3e00000
	v_cmp_nlg_f32_e64 vcc_lo, 0x7f800000, |v1|
	s_wait_alu 0xfffd
	s_delay_alu instid0(VALU_DEP_2) | instskip(NEXT) | instid1(VALU_DEP_1)
	v_dual_cndmask_b32 v1, v2, v1 :: v_dual_add_nc_u32 v0, v0, v4
	v_cmp_le_i32_e32 vcc_lo, s12, v0
	s_delay_alu instid0(VALU_DEP_2)
	v_cvt_pk_fp8_f32 v9, v1, v1
	s_or_b32 s0, vcc_lo, s0
	global_store_b8 v10, v9, s[10:11]
	s_wait_alu 0xfffe
	s_and_not1_b32 exec_lo, exec_lo, s0
	s_cbranch_execnz .LBB0_14
.LBB0_15:
	s_endpgm
	.section	.rodata,"a",@progbits
	.p2align	6, 0x0
	.amdhsa_kernel _ZN4vllm32rms_norm_static_fp8_quant_kernelIfN3c1013Float8_e4m3fnEEEvPT0_PKT_iS7_PKffii
		.amdhsa_group_segment_fixed_size 68
		.amdhsa_private_segment_fixed_size 0
		.amdhsa_kernarg_size 312
		.amdhsa_user_sgpr_count 2
		.amdhsa_user_sgpr_dispatch_ptr 0
		.amdhsa_user_sgpr_queue_ptr 0
		.amdhsa_user_sgpr_kernarg_segment_ptr 1
		.amdhsa_user_sgpr_dispatch_id 0
		.amdhsa_user_sgpr_private_segment_size 0
		.amdhsa_wavefront_size32 1
		.amdhsa_uses_dynamic_stack 0
		.amdhsa_enable_private_segment 0
		.amdhsa_system_sgpr_workgroup_id_x 1
		.amdhsa_system_sgpr_workgroup_id_y 0
		.amdhsa_system_sgpr_workgroup_id_z 0
		.amdhsa_system_sgpr_workgroup_info 0
		.amdhsa_system_vgpr_workitem_id 0
		.amdhsa_next_free_vgpr 12
		.amdhsa_next_free_sgpr 17
		.amdhsa_reserve_vcc 1
		.amdhsa_float_round_mode_32 0
		.amdhsa_float_round_mode_16_64 0
		.amdhsa_float_denorm_mode_32 3
		.amdhsa_float_denorm_mode_16_64 3
		.amdhsa_fp16_overflow 0
		.amdhsa_workgroup_processor_mode 1
		.amdhsa_memory_ordered 1
		.amdhsa_forward_progress 1
		.amdhsa_inst_pref_size 13
		.amdhsa_round_robin_scheduling 0
		.amdhsa_exception_fp_ieee_invalid_op 0
		.amdhsa_exception_fp_denorm_src 0
		.amdhsa_exception_fp_ieee_div_zero 0
		.amdhsa_exception_fp_ieee_overflow 0
		.amdhsa_exception_fp_ieee_underflow 0
		.amdhsa_exception_fp_ieee_inexact 0
		.amdhsa_exception_int_div_zero 0
	.end_amdhsa_kernel
	.section	.text._ZN4vllm32rms_norm_static_fp8_quant_kernelIfN3c1013Float8_e4m3fnEEEvPT0_PKT_iS7_PKffii,"axG",@progbits,_ZN4vllm32rms_norm_static_fp8_quant_kernelIfN3c1013Float8_e4m3fnEEEvPT0_PKT_iS7_PKffii,comdat
.Lfunc_end0:
	.size	_ZN4vllm32rms_norm_static_fp8_quant_kernelIfN3c1013Float8_e4m3fnEEEvPT0_PKT_iS7_PKffii, .Lfunc_end0-_ZN4vllm32rms_norm_static_fp8_quant_kernelIfN3c1013Float8_e4m3fnEEEvPT0_PKT_iS7_PKffii
                                        ; -- End function
	.set _ZN4vllm32rms_norm_static_fp8_quant_kernelIfN3c1013Float8_e4m3fnEEEvPT0_PKT_iS7_PKffii.num_vgpr, 12
	.set _ZN4vllm32rms_norm_static_fp8_quant_kernelIfN3c1013Float8_e4m3fnEEEvPT0_PKT_iS7_PKffii.num_agpr, 0
	.set _ZN4vllm32rms_norm_static_fp8_quant_kernelIfN3c1013Float8_e4m3fnEEEvPT0_PKT_iS7_PKffii.numbered_sgpr, 17
	.set _ZN4vllm32rms_norm_static_fp8_quant_kernelIfN3c1013Float8_e4m3fnEEEvPT0_PKT_iS7_PKffii.num_named_barrier, 0
	.set _ZN4vllm32rms_norm_static_fp8_quant_kernelIfN3c1013Float8_e4m3fnEEEvPT0_PKT_iS7_PKffii.private_seg_size, 0
	.set _ZN4vllm32rms_norm_static_fp8_quant_kernelIfN3c1013Float8_e4m3fnEEEvPT0_PKT_iS7_PKffii.uses_vcc, 1
	.set _ZN4vllm32rms_norm_static_fp8_quant_kernelIfN3c1013Float8_e4m3fnEEEvPT0_PKT_iS7_PKffii.uses_flat_scratch, 0
	.set _ZN4vllm32rms_norm_static_fp8_quant_kernelIfN3c1013Float8_e4m3fnEEEvPT0_PKT_iS7_PKffii.has_dyn_sized_stack, 0
	.set _ZN4vllm32rms_norm_static_fp8_quant_kernelIfN3c1013Float8_e4m3fnEEEvPT0_PKT_iS7_PKffii.has_recursion, 0
	.set _ZN4vllm32rms_norm_static_fp8_quant_kernelIfN3c1013Float8_e4m3fnEEEvPT0_PKT_iS7_PKffii.has_indirect_call, 0
	.section	.AMDGPU.csdata,"",@progbits
; Kernel info:
; codeLenInByte = 1608
; TotalNumSgprs: 19
; NumVgprs: 12
; ScratchSize: 0
; MemoryBound: 0
; FloatMode: 240
; IeeeMode: 1
; LDSByteSize: 68 bytes/workgroup (compile time only)
; SGPRBlocks: 0
; VGPRBlocks: 1
; NumSGPRsForWavesPerEU: 19
; NumVGPRsForWavesPerEU: 12
; Occupancy: 16
; WaveLimiterHint : 0
; COMPUTE_PGM_RSRC2:SCRATCH_EN: 0
; COMPUTE_PGM_RSRC2:USER_SGPR: 2
; COMPUTE_PGM_RSRC2:TRAP_HANDLER: 0
; COMPUTE_PGM_RSRC2:TGID_X_EN: 1
; COMPUTE_PGM_RSRC2:TGID_Y_EN: 0
; COMPUTE_PGM_RSRC2:TGID_Z_EN: 0
; COMPUTE_PGM_RSRC2:TIDIG_COMP_CNT: 0
	.section	.text._ZN4vllm32rms_norm_static_fp8_quant_kernelIfN3c1015Float8_e4m3fnuzEEEvPT0_PKT_iS7_PKffii,"axG",@progbits,_ZN4vllm32rms_norm_static_fp8_quant_kernelIfN3c1015Float8_e4m3fnuzEEEvPT0_PKT_iS7_PKffii,comdat
	.protected	_ZN4vllm32rms_norm_static_fp8_quant_kernelIfN3c1015Float8_e4m3fnuzEEEvPT0_PKT_iS7_PKffii ; -- Begin function _ZN4vllm32rms_norm_static_fp8_quant_kernelIfN3c1015Float8_e4m3fnuzEEEvPT0_PKT_iS7_PKffii
	.globl	_ZN4vllm32rms_norm_static_fp8_quant_kernelIfN3c1015Float8_e4m3fnuzEEEvPT0_PKT_iS7_PKffii
	.p2align	8
	.type	_ZN4vllm32rms_norm_static_fp8_quant_kernelIfN3c1015Float8_e4m3fnuzEEEvPT0_PKT_iS7_PKffii,@function
_ZN4vllm32rms_norm_static_fp8_quant_kernelIfN3c1015Float8_e4m3fnuzEEEvPT0_PKT_iS7_PKffii: ; @_ZN4vllm32rms_norm_static_fp8_quant_kernelIfN3c1015Float8_e4m3fnuzEEEvPT0_PKT_iS7_PKffii
; %bb.0:
	s_load_b32 s7, s[0:1], 0x30
	s_mov_b32 s3, exec_lo
                                        ; implicit-def: $sgpr4
	s_wait_kmcnt 0x0
	v_cmp_gt_i32_e64 s2, s7, v0
	v_cmpx_le_i32_e64 s7, v0
	s_xor_b32 s3, exec_lo, s3
	s_cbranch_execz .LBB1_2
; %bb.1:
	s_load_b32 s4, s[0:1], 0x44
	s_wait_kmcnt 0x0
	s_and_b32 s4, s4, 0xffff
.LBB1_2:
	s_or_saveexec_b32 s3, s3
	v_dual_mov_b32 v3, 0 :: v_dual_mov_b32 v2, s4
	s_xor_b32 exec_lo, exec_lo, s3
	s_cbranch_execz .LBB1_6
; %bb.3:
	s_clause 0x1
	s_load_b96 s[4:6], s[0:1], 0x8
	s_load_b32 s9, s[0:1], 0x44
	v_dual_mov_b32 v2, 0 :: v_dual_mov_b32 v3, 0
	v_mov_b32_e32 v4, v0
	s_wait_kmcnt 0x0
	s_mul_i32 s8, s6, ttmp9
	s_and_b32 s6, s9, 0xffff
	s_mov_b32 s9, 0
.LBB1_4:                                ; =>This Inner Loop Header: Depth=1
	v_add_nc_u32_e32 v1, s8, v4
	s_delay_alu instid0(VALU_DEP_1) | instskip(NEXT) | instid1(VALU_DEP_1)
	v_lshlrev_b64_e32 v[5:6], 2, v[1:2]
	v_add_co_u32 v5, vcc_lo, s4, v5
	s_wait_alu 0xfffd
	s_delay_alu instid0(VALU_DEP_2) | instskip(SKIP_4) | instid1(VALU_DEP_1)
	v_add_co_ci_u32_e64 v6, null, s5, v6, vcc_lo
	global_load_b32 v1, v[5:6], off
	s_wait_loadcnt 0x0
	s_wait_alu 0xfffe
	v_dual_fmac_f32 v3, v1, v1 :: v_dual_add_nc_u32 v4, s6, v4
	v_cmp_le_i32_e32 vcc_lo, s7, v4
	s_or_b32 s9, vcc_lo, s9
	s_wait_alu 0xfffe
	s_and_not1_b32 exec_lo, exec_lo, s9
	s_cbranch_execnz .LBB1_4
; %bb.5:
	s_or_b32 exec_lo, exec_lo, s9
	v_mov_b32_e32 v2, s6
.LBB1_6:
	s_or_b32 exec_lo, exec_lo, s3
	v_mbcnt_lo_u32_b32 v1, -1, 0
	v_and_b32_e32 v5, 0x3c0, v0
	s_mov_b32 s3, exec_lo
	s_delay_alu instid0(VALU_DEP_2) | instskip(NEXT) | instid1(VALU_DEP_2)
	v_cmp_ne_u32_e32 vcc_lo, 63, v1
	v_sub_nc_u32_e64 v5, v2, v5 clamp
	s_wait_alu 0xfffd
	v_add_co_ci_u32_e64 v4, null, 0, v1, vcc_lo
	v_cmp_gt_u32_e32 vcc_lo, 62, v1
	s_delay_alu instid0(VALU_DEP_2)
	v_lshlrev_b32_e32 v4, 2, v4
	s_wait_alu 0xfffd
	v_cndmask_b32_e64 v6, 0, 2, vcc_lo
	ds_bpermute_b32 v4, v4, v3
	v_add_nc_u32_e32 v7, 1, v1
	v_add_lshl_u32 v6, v6, v1, 2
	s_wait_dscnt 0x0
	v_add_f32_e32 v4, v3, v4
	s_delay_alu instid0(VALU_DEP_3) | instskip(SKIP_1) | instid1(VALU_DEP_2)
	v_cmp_lt_u32_e32 vcc_lo, v7, v5
	s_wait_alu 0xfffd
	v_cndmask_b32_e32 v3, v3, v4, vcc_lo
	v_cmp_gt_u32_e32 vcc_lo, 60, v1
	ds_bpermute_b32 v4, v6, v3
	v_add_nc_u32_e32 v7, 2, v1
	s_wait_alu 0xfffd
	v_cndmask_b32_e64 v6, 0, 4, vcc_lo
	s_delay_alu instid0(VALU_DEP_1) | instskip(SKIP_4) | instid1(VALU_DEP_2)
	v_add_lshl_u32 v6, v6, v1, 2
	s_wait_dscnt 0x0
	v_add_f32_e32 v4, v3, v4
	v_cmp_lt_u32_e32 vcc_lo, v7, v5
	s_wait_alu 0xfffd
	v_cndmask_b32_e32 v3, v3, v4, vcc_lo
	v_cmp_gt_u32_e32 vcc_lo, 56, v1
	ds_bpermute_b32 v4, v6, v3
	v_add_nc_u32_e32 v7, 4, v1
	s_wait_alu 0xfffd
	v_cndmask_b32_e64 v6, 0, 8, vcc_lo
	s_delay_alu instid0(VALU_DEP_1) | instskip(SKIP_4) | instid1(VALU_DEP_2)
	v_add_lshl_u32 v6, v6, v1, 2
	s_wait_dscnt 0x0
	v_add_f32_e32 v4, v3, v4
	v_cmp_lt_u32_e32 vcc_lo, v7, v5
	s_wait_alu 0xfffd
	v_cndmask_b32_e32 v3, v3, v4, vcc_lo
	v_cmp_gt_u32_e32 vcc_lo, 48, v1
	ds_bpermute_b32 v4, v6, v3
	v_add_nc_u32_e32 v7, 8, v1
	s_wait_alu 0xfffd
	v_cndmask_b32_e64 v6, 0, 16, vcc_lo
	s_delay_alu instid0(VALU_DEP_1) | instskip(SKIP_4) | instid1(VALU_DEP_2)
	v_add_lshl_u32 v6, v6, v1, 2
	s_wait_dscnt 0x0
	v_add_f32_e32 v4, v3, v4
	v_cmp_lt_u32_e32 vcc_lo, v7, v5
	s_wait_alu 0xfffd
	v_cndmask_b32_e32 v4, v3, v4, vcc_lo
	ds_bpermute_b32 v3, v6, v4
	v_add_nc_u32_e32 v6, 16, v1
	s_delay_alu instid0(VALU_DEP_1) | instskip(SKIP_3) | instid1(VALU_DEP_1)
	v_cmp_lt_u32_e32 vcc_lo, v6, v5
	s_wait_dscnt 0x0
	v_add_f32_e32 v7, v4, v3
	s_wait_alu 0xfffd
	v_dual_cndmask_b32 v4, v4, v7 :: v_dual_lshlrev_b32 v3, 2, v1
	v_or_b32_e32 v7, 32, v1
	ds_bpermute_b32 v6, v3, v4 offset:128
	v_cmp_lt_u32_e32 vcc_lo, v7, v5
	s_wait_dscnt 0x0
	v_add_f32_e32 v6, v4, v6
	s_wait_alu 0xfffd
	s_delay_alu instid0(VALU_DEP_1)
	v_cndmask_b32_e32 v4, v4, v6, vcc_lo
	v_cmpx_eq_u32_e32 0, v1
; %bb.7:
	v_lshrrev_b32_e32 v5, 4, v0
	s_delay_alu instid0(VALU_DEP_1)
	v_and_b32_e32 v5, 60, v5
	ds_store_b32 v5, v4
; %bb.8:
	s_or_b32 exec_lo, exec_lo, s3
	s_delay_alu instid0(SALU_CYCLE_1)
	s_mov_b32 s4, exec_lo
	s_wait_dscnt 0x0
	s_barrier_signal -1
	s_barrier_wait -1
	global_inv scope:SCOPE_SE
	v_cmpx_gt_u32_e32 16, v0
	s_cbranch_execz .LBB1_10
; %bb.9:
	ds_load_b32 v4, v3
	v_and_b32_e32 v5, 15, v1
	v_add_nc_u32_e32 v2, 63, v2
	v_or_b32_e32 v3, 32, v3
	s_delay_alu instid0(VALU_DEP_3) | instskip(NEXT) | instid1(VALU_DEP_3)
	v_cmp_ne_u32_e32 vcc_lo, 15, v5
	v_lshrrev_b32_e32 v2, 6, v2
	s_wait_alu 0xfffd
	v_add_co_ci_u32_e64 v6, null, 0, v1, vcc_lo
	s_delay_alu instid0(VALU_DEP_1)
	v_lshlrev_b32_e32 v6, 2, v6
	s_wait_dscnt 0x0
	ds_bpermute_b32 v6, v6, v4
	s_wait_dscnt 0x0
	v_add_f32_e32 v6, v4, v6
	v_cmp_gt_u32_e32 vcc_lo, 14, v5
	v_add_nc_u32_e32 v8, 1, v5
	v_cmp_gt_u32_e64 s3, 12, v5
	v_add_nc_u32_e32 v9, 2, v5
	s_wait_alu 0xfffd
	v_cndmask_b32_e64 v7, 0, 2, vcc_lo
	v_cmp_lt_u32_e32 vcc_lo, v8, v2
	v_cndmask_b32_e64 v8, 0, 4, s3
	v_cmp_lt_u32_e64 s3, v9, v2
	s_delay_alu instid0(VALU_DEP_4)
	v_add_lshl_u32 v7, v7, v1, 2
	s_wait_alu 0xfffd
	v_cndmask_b32_e32 v6, v4, v6, vcc_lo
	v_add_lshl_u32 v1, v8, v1, 2
	ds_bpermute_b32 v7, v7, v6
	s_wait_dscnt 0x0
	v_add_f32_e32 v7, v6, v7
	s_wait_alu 0xf1ff
	s_delay_alu instid0(VALU_DEP_1)
	v_cndmask_b32_e64 v6, v6, v7, s3
	v_add_nc_u32_e32 v7, 4, v5
	v_add_nc_u32_e32 v5, 8, v5
	ds_bpermute_b32 v1, v1, v6
	v_cmp_lt_u32_e64 s3, v7, v2
	s_wait_dscnt 0x0
	v_add_f32_e32 v1, v6, v1
	s_wait_alu 0xf1ff
	s_delay_alu instid0(VALU_DEP_1)
	v_cndmask_b32_e64 v1, v6, v1, s3
	v_cmp_lt_u32_e64 s3, v5, v2
	ds_bpermute_b32 v3, v3, v1
	s_wait_dscnt 0x0
	v_add_f32_e32 v3, v1, v3
	s_wait_alu 0xf1ff
	s_delay_alu instid0(VALU_DEP_1) | instskip(NEXT) | instid1(VALU_DEP_1)
	v_cndmask_b32_e64 v1, v1, v3, s3
	v_cndmask_b32_e32 v4, v4, v1, vcc_lo
.LBB1_10:
	s_wait_alu 0xfffe
	s_or_b32 exec_lo, exec_lo, s4
	s_delay_alu instid0(SALU_CYCLE_1)
	s_mov_b32 s3, exec_lo
	v_cmpx_eq_u32_e32 0, v0
	s_cbranch_execz .LBB1_12
; %bb.11:
	s_cvt_f32_i32 s4, s7
	s_load_b32 s0, s[0:1], 0x28
	s_delay_alu instid0(SALU_CYCLE_2) | instskip(SKIP_1) | instid1(VALU_DEP_2)
	v_div_scale_f32 v0, null, s4, s4, v4
	v_div_scale_f32 v3, vcc_lo, v4, s4, v4
	v_rcp_f32_e32 v1, v0
	s_delay_alu instid0(TRANS32_DEP_1) | instskip(NEXT) | instid1(VALU_DEP_1)
	v_fma_f32 v2, -v0, v1, 1.0
	v_fmac_f32_e32 v1, v2, v1
	s_delay_alu instid0(VALU_DEP_1) | instskip(NEXT) | instid1(VALU_DEP_1)
	v_mul_f32_e32 v2, v3, v1
	v_fma_f32 v5, -v0, v2, v3
	s_delay_alu instid0(VALU_DEP_1) | instskip(NEXT) | instid1(VALU_DEP_1)
	v_fmac_f32_e32 v2, v5, v1
	v_fma_f32 v0, -v0, v2, v3
	s_wait_alu 0xfffd
	s_delay_alu instid0(VALU_DEP_1) | instskip(NEXT) | instid1(VALU_DEP_1)
	v_div_fmas_f32 v0, v0, v1, v2
	v_div_fixup_f32 v0, v0, s4, v4
	s_wait_kmcnt 0x0
	s_delay_alu instid0(VALU_DEP_1) | instskip(NEXT) | instid1(VALU_DEP_1)
	v_add_f32_e32 v0, s0, v0
	v_mul_f32_e32 v1, 0x4b800000, v0
	v_cmp_gt_f32_e32 vcc_lo, 0x800000, v0
	s_wait_alu 0xfffd
	s_delay_alu instid0(VALU_DEP_2) | instskip(NEXT) | instid1(VALU_DEP_1)
	v_cndmask_b32_e32 v0, v0, v1, vcc_lo
	v_rsq_f32_e32 v0, v0
	s_delay_alu instid0(TRANS32_DEP_1) | instskip(NEXT) | instid1(VALU_DEP_1)
	v_mul_f32_e32 v1, 0x45800000, v0
	v_dual_cndmask_b32 v0, v0, v1 :: v_dual_mov_b32 v1, 0
	ds_store_b32 v1, v0 offset:64
.LBB1_12:
	s_wait_alu 0xfffe
	s_or_b32 exec_lo, exec_lo, s3
	s_wait_loadcnt_dscnt 0x0
	s_barrier_signal -1
	s_barrier_wait -1
	global_inv scope:SCOPE_SE
	s_and_saveexec_b32 s0, s2
	s_cbranch_execnz .LBB1_14
; %bb.13:
	s_endpgm
.LBB1_14:
	s_trap 2
	; divergent unreachable
	s_endpgm
	.section	.rodata,"a",@progbits
	.p2align	6, 0x0
	.amdhsa_kernel _ZN4vllm32rms_norm_static_fp8_quant_kernelIfN3c1015Float8_e4m3fnuzEEEvPT0_PKT_iS7_PKffii
		.amdhsa_group_segment_fixed_size 68
		.amdhsa_private_segment_fixed_size 0
		.amdhsa_kernarg_size 312
		.amdhsa_user_sgpr_count 2
		.amdhsa_user_sgpr_dispatch_ptr 0
		.amdhsa_user_sgpr_queue_ptr 0
		.amdhsa_user_sgpr_kernarg_segment_ptr 1
		.amdhsa_user_sgpr_dispatch_id 0
		.amdhsa_user_sgpr_private_segment_size 0
		.amdhsa_wavefront_size32 1
		.amdhsa_uses_dynamic_stack 0
		.amdhsa_enable_private_segment 0
		.amdhsa_system_sgpr_workgroup_id_x 1
		.amdhsa_system_sgpr_workgroup_id_y 0
		.amdhsa_system_sgpr_workgroup_id_z 0
		.amdhsa_system_sgpr_workgroup_info 0
		.amdhsa_system_vgpr_workitem_id 0
		.amdhsa_next_free_vgpr 10
		.amdhsa_next_free_sgpr 10
		.amdhsa_reserve_vcc 1
		.amdhsa_float_round_mode_32 0
		.amdhsa_float_round_mode_16_64 0
		.amdhsa_float_denorm_mode_32 3
		.amdhsa_float_denorm_mode_16_64 3
		.amdhsa_fp16_overflow 0
		.amdhsa_workgroup_processor_mode 1
		.amdhsa_memory_ordered 1
		.amdhsa_forward_progress 1
		.amdhsa_inst_pref_size 10
		.amdhsa_round_robin_scheduling 0
		.amdhsa_exception_fp_ieee_invalid_op 0
		.amdhsa_exception_fp_denorm_src 0
		.amdhsa_exception_fp_ieee_div_zero 0
		.amdhsa_exception_fp_ieee_overflow 0
		.amdhsa_exception_fp_ieee_underflow 0
		.amdhsa_exception_fp_ieee_inexact 0
		.amdhsa_exception_int_div_zero 0
	.end_amdhsa_kernel
	.section	.text._ZN4vllm32rms_norm_static_fp8_quant_kernelIfN3c1015Float8_e4m3fnuzEEEvPT0_PKT_iS7_PKffii,"axG",@progbits,_ZN4vllm32rms_norm_static_fp8_quant_kernelIfN3c1015Float8_e4m3fnuzEEEvPT0_PKT_iS7_PKffii,comdat
.Lfunc_end1:
	.size	_ZN4vllm32rms_norm_static_fp8_quant_kernelIfN3c1015Float8_e4m3fnuzEEEvPT0_PKT_iS7_PKffii, .Lfunc_end1-_ZN4vllm32rms_norm_static_fp8_quant_kernelIfN3c1015Float8_e4m3fnuzEEEvPT0_PKT_iS7_PKffii
                                        ; -- End function
	.set _ZN4vllm32rms_norm_static_fp8_quant_kernelIfN3c1015Float8_e4m3fnuzEEEvPT0_PKT_iS7_PKffii.num_vgpr, 10
	.set _ZN4vllm32rms_norm_static_fp8_quant_kernelIfN3c1015Float8_e4m3fnuzEEEvPT0_PKT_iS7_PKffii.num_agpr, 0
	.set _ZN4vllm32rms_norm_static_fp8_quant_kernelIfN3c1015Float8_e4m3fnuzEEEvPT0_PKT_iS7_PKffii.numbered_sgpr, 10
	.set _ZN4vllm32rms_norm_static_fp8_quant_kernelIfN3c1015Float8_e4m3fnuzEEEvPT0_PKT_iS7_PKffii.num_named_barrier, 0
	.set _ZN4vllm32rms_norm_static_fp8_quant_kernelIfN3c1015Float8_e4m3fnuzEEEvPT0_PKT_iS7_PKffii.private_seg_size, 0
	.set _ZN4vllm32rms_norm_static_fp8_quant_kernelIfN3c1015Float8_e4m3fnuzEEEvPT0_PKT_iS7_PKffii.uses_vcc, 1
	.set _ZN4vllm32rms_norm_static_fp8_quant_kernelIfN3c1015Float8_e4m3fnuzEEEvPT0_PKT_iS7_PKffii.uses_flat_scratch, 0
	.set _ZN4vllm32rms_norm_static_fp8_quant_kernelIfN3c1015Float8_e4m3fnuzEEEvPT0_PKT_iS7_PKffii.has_dyn_sized_stack, 0
	.set _ZN4vllm32rms_norm_static_fp8_quant_kernelIfN3c1015Float8_e4m3fnuzEEEvPT0_PKT_iS7_PKffii.has_recursion, 0
	.set _ZN4vllm32rms_norm_static_fp8_quant_kernelIfN3c1015Float8_e4m3fnuzEEEvPT0_PKT_iS7_PKffii.has_indirect_call, 0
	.section	.AMDGPU.csdata,"",@progbits
; Kernel info:
; codeLenInByte = 1200
; TotalNumSgprs: 12
; NumVgprs: 10
; ScratchSize: 0
; MemoryBound: 0
; FloatMode: 240
; IeeeMode: 1
; LDSByteSize: 68 bytes/workgroup (compile time only)
; SGPRBlocks: 0
; VGPRBlocks: 1
; NumSGPRsForWavesPerEU: 12
; NumVGPRsForWavesPerEU: 10
; Occupancy: 16
; WaveLimiterHint : 0
; COMPUTE_PGM_RSRC2:SCRATCH_EN: 0
; COMPUTE_PGM_RSRC2:USER_SGPR: 2
; COMPUTE_PGM_RSRC2:TRAP_HANDLER: 0
; COMPUTE_PGM_RSRC2:TGID_X_EN: 1
; COMPUTE_PGM_RSRC2:TGID_Y_EN: 0
; COMPUTE_PGM_RSRC2:TGID_Z_EN: 0
; COMPUTE_PGM_RSRC2:TIDIG_COMP_CNT: 0
	.section	.text._ZN4vllm32rms_norm_static_fp8_quant_kernelIN3c104HalfENS1_13Float8_e4m3fnEEEvPT0_PKT_iS8_PKffii,"axG",@progbits,_ZN4vllm32rms_norm_static_fp8_quant_kernelIN3c104HalfENS1_13Float8_e4m3fnEEEvPT0_PKT_iS8_PKffii,comdat
	.protected	_ZN4vllm32rms_norm_static_fp8_quant_kernelIN3c104HalfENS1_13Float8_e4m3fnEEEvPT0_PKT_iS8_PKffii ; -- Begin function _ZN4vllm32rms_norm_static_fp8_quant_kernelIN3c104HalfENS1_13Float8_e4m3fnEEEvPT0_PKT_iS8_PKffii
	.globl	_ZN4vllm32rms_norm_static_fp8_quant_kernelIN3c104HalfENS1_13Float8_e4m3fnEEEvPT0_PKT_iS8_PKffii
	.p2align	8
	.type	_ZN4vllm32rms_norm_static_fp8_quant_kernelIN3c104HalfENS1_13Float8_e4m3fnEEEvPT0_PKT_iS8_PKffii,@function
_ZN4vllm32rms_norm_static_fp8_quant_kernelIN3c104HalfENS1_13Float8_e4m3fnEEEvPT0_PKT_iS8_PKffii: ; @_ZN4vllm32rms_norm_static_fp8_quant_kernelIN3c104HalfENS1_13Float8_e4m3fnEEEvPT0_PKT_iS8_PKffii
; %bb.0:
	s_clause 0x1
	s_load_b32 s12, s[0:1], 0x30
	s_load_b64 s[8:9], s[0:1], 0x8
	s_mov_b32 s3, exec_lo
                                        ; implicit-def: $sgpr14
                                        ; implicit-def: $sgpr15
	s_wait_kmcnt 0x0
	v_cmp_gt_i32_e64 s2, s12, v0
	v_cmpx_le_i32_e64 s12, v0
	s_xor_b32 s3, exec_lo, s3
	s_cbranch_execz .LBB2_2
; %bb.1:
	s_load_b32 s4, s[0:1], 0x44
	s_mov_b32 s14, ttmp9
	s_wait_kmcnt 0x0
	s_and_b32 s15, s4, 0xffff
.LBB2_2:
	s_or_saveexec_b32 s3, s3
	s_clause 0x2
	s_load_b128 s[4:7], s[0:1], 0x18
	s_load_b64 s[10:11], s[0:1], 0x0
	s_load_b32 s13, s[0:1], 0x10
	v_dual_mov_b32 v3, 0 :: v_dual_mov_b32 v4, s15
	v_mov_b32_e32 v1, s14
	s_xor_b32 exec_lo, exec_lo, s3
	s_cbranch_execz .LBB2_6
; %bb.3:
	s_load_b32 s14, s[0:1], 0x44
	v_dual_mov_b32 v2, 0 :: v_dual_mov_b32 v3, 0
	v_mov_b32_e32 v4, v0
	s_wait_kmcnt 0x0
	s_mul_i32 s15, s13, ttmp9
	s_mov_b32 s16, 0
	s_and_b32 s14, s14, 0xffff
.LBB2_4:                                ; =>This Inner Loop Header: Depth=1
	s_wait_alu 0xfffe
	v_add_nc_u32_e32 v1, s15, v4
	v_add_nc_u32_e32 v4, s14, v4
	s_delay_alu instid0(VALU_DEP_2) | instskip(NEXT) | instid1(VALU_DEP_1)
	v_lshlrev_b64_e32 v[5:6], 1, v[1:2]
	v_add_co_u32 v5, vcc_lo, s8, v5
	s_wait_alu 0xfffd
	s_delay_alu instid0(VALU_DEP_2)
	v_add_co_ci_u32_e64 v6, null, s9, v6, vcc_lo
	v_cmp_le_i32_e32 vcc_lo, s12, v4
	global_load_u16 v1, v[5:6], off
	s_or_b32 s16, vcc_lo, s16
	s_wait_loadcnt 0x0
	v_fma_mix_f32 v3, v1, v1, v3 op_sel_hi:[1,1,0]
	s_and_not1_b32 exec_lo, exec_lo, s16
	s_cbranch_execnz .LBB2_4
; %bb.5:
	s_or_b32 exec_lo, exec_lo, s16
	v_dual_mov_b32 v1, ttmp9 :: v_dual_mov_b32 v4, s14
.LBB2_6:
	s_or_b32 exec_lo, exec_lo, s3
	v_mbcnt_lo_u32_b32 v2, -1, 0
	s_mov_b32 s3, exec_lo
	s_delay_alu instid0(VALU_DEP_1) | instskip(SKIP_3) | instid1(VALU_DEP_2)
	v_cmp_ne_u32_e32 vcc_lo, 63, v2
	s_wait_alu 0xfffd
	v_add_co_ci_u32_e64 v5, null, 0, v2, vcc_lo
	v_cmp_gt_u32_e32 vcc_lo, 62, v2
	v_lshlrev_b32_e32 v5, 2, v5
	s_wait_alu 0xfffd
	v_cndmask_b32_e64 v7, 0, 2, vcc_lo
	ds_bpermute_b32 v5, v5, v3
	v_and_b32_e32 v6, 0x3c0, v0
	v_add_lshl_u32 v7, v7, v2, 2
	s_wait_dscnt 0x0
	v_add_f32_e32 v5, v3, v5
	s_delay_alu instid0(VALU_DEP_3) | instskip(SKIP_1) | instid1(VALU_DEP_1)
	v_sub_nc_u32_e64 v6, v4, v6 clamp
	v_add_nc_u32_e32 v8, 1, v2
	v_cmp_lt_u32_e32 vcc_lo, v8, v6
	s_wait_alu 0xfffd
	v_cndmask_b32_e32 v3, v3, v5, vcc_lo
	v_cmp_gt_u32_e32 vcc_lo, 60, v2
	ds_bpermute_b32 v5, v7, v3
	v_add_nc_u32_e32 v8, 2, v2
	s_wait_alu 0xfffd
	v_cndmask_b32_e64 v7, 0, 4, vcc_lo
	s_delay_alu instid0(VALU_DEP_1) | instskip(SKIP_4) | instid1(VALU_DEP_2)
	v_add_lshl_u32 v7, v7, v2, 2
	s_wait_dscnt 0x0
	v_add_f32_e32 v5, v3, v5
	v_cmp_lt_u32_e32 vcc_lo, v8, v6
	s_wait_alu 0xfffd
	v_dual_cndmask_b32 v3, v3, v5 :: v_dual_add_nc_u32 v8, 4, v2
	v_cmp_gt_u32_e32 vcc_lo, 56, v2
	ds_bpermute_b32 v5, v7, v3
	s_wait_alu 0xfffd
	v_cndmask_b32_e64 v7, 0, 8, vcc_lo
	v_cmp_lt_u32_e32 vcc_lo, v8, v6
	v_add_nc_u32_e32 v8, 8, v2
	s_delay_alu instid0(VALU_DEP_3) | instskip(SKIP_3) | instid1(VALU_DEP_1)
	v_add_lshl_u32 v7, v7, v2, 2
	s_wait_dscnt 0x0
	v_add_f32_e32 v5, v3, v5
	s_wait_alu 0xfffd
	v_cndmask_b32_e32 v3, v3, v5, vcc_lo
	v_cmp_gt_u32_e32 vcc_lo, 48, v2
	ds_bpermute_b32 v5, v7, v3
	s_wait_alu 0xfffd
	v_cndmask_b32_e64 v7, 0, 16, vcc_lo
	v_cmp_lt_u32_e32 vcc_lo, v8, v6
	s_delay_alu instid0(VALU_DEP_2) | instskip(SKIP_3) | instid1(VALU_DEP_1)
	v_add_lshl_u32 v7, v7, v2, 2
	s_wait_dscnt 0x0
	v_add_f32_e32 v5, v3, v5
	s_wait_alu 0xfffd
	v_cndmask_b32_e32 v5, v3, v5, vcc_lo
	ds_bpermute_b32 v3, v7, v5
	s_wait_dscnt 0x0
	v_dual_add_f32 v8, v5, v3 :: v_dual_add_nc_u32 v7, 16, v2
	s_delay_alu instid0(VALU_DEP_1) | instskip(SKIP_2) | instid1(VALU_DEP_3)
	v_cmp_lt_u32_e32 vcc_lo, v7, v6
	v_lshlrev_b32_e32 v3, 2, v2
	s_wait_alu 0xfffd
	v_cndmask_b32_e32 v5, v5, v8, vcc_lo
	v_or_b32_e32 v8, 32, v2
	ds_bpermute_b32 v7, v3, v5 offset:128
	v_cmp_lt_u32_e32 vcc_lo, v8, v6
	s_wait_dscnt 0x0
	v_add_f32_e32 v7, v5, v7
	s_wait_alu 0xfffd
	s_delay_alu instid0(VALU_DEP_1)
	v_cndmask_b32_e32 v5, v5, v7, vcc_lo
	v_cmpx_eq_u32_e32 0, v2
; %bb.7:
	v_lshrrev_b32_e32 v6, 4, v0
	s_delay_alu instid0(VALU_DEP_1)
	v_and_b32_e32 v6, 60, v6
	ds_store_b32 v6, v5
; %bb.8:
	s_or_b32 exec_lo, exec_lo, s3
	s_delay_alu instid0(SALU_CYCLE_1)
	s_mov_b32 s14, exec_lo
	s_wait_dscnt 0x0
	s_barrier_signal -1
	s_barrier_wait -1
	global_inv scope:SCOPE_SE
	v_cmpx_gt_u32_e32 16, v0
	s_cbranch_execz .LBB2_10
; %bb.9:
	ds_load_b32 v5, v3
	v_and_b32_e32 v6, 15, v2
	v_or_b32_e32 v3, 32, v3
	s_delay_alu instid0(VALU_DEP_2) | instskip(SKIP_2) | instid1(VALU_DEP_1)
	v_cmp_ne_u32_e32 vcc_lo, 15, v6
	s_wait_alu 0xfffd
	v_add_co_ci_u32_e64 v7, null, 0, v2, vcc_lo
	v_lshlrev_b32_e32 v7, 2, v7
	s_wait_dscnt 0x0
	ds_bpermute_b32 v7, v7, v5
	s_wait_dscnt 0x0
	v_dual_add_f32 v7, v5, v7 :: v_dual_add_nc_u32 v8, 63, v4
	v_cmp_gt_u32_e32 vcc_lo, 14, v6
	v_add_nc_u32_e32 v10, 1, v6
	v_cmp_gt_u32_e64 s3, 12, v6
	v_add_nc_u32_e32 v11, 2, v6
	v_lshrrev_b32_e32 v8, 6, v8
	s_wait_alu 0xfffd
	v_cndmask_b32_e64 v9, 0, 2, vcc_lo
	s_delay_alu instid0(VALU_DEP_2) | instskip(NEXT) | instid1(VALU_DEP_2)
	v_cmp_lt_u32_e32 vcc_lo, v10, v8
	v_add_lshl_u32 v9, v9, v2, 2
	v_cndmask_b32_e64 v10, 0, 4, s3
	v_cmp_lt_u32_e64 s3, v11, v8
	s_wait_alu 0xfffd
	v_cndmask_b32_e32 v7, v5, v7, vcc_lo
	s_delay_alu instid0(VALU_DEP_3) | instskip(SKIP_4) | instid1(VALU_DEP_1)
	v_add_lshl_u32 v2, v10, v2, 2
	ds_bpermute_b32 v9, v9, v7
	s_wait_dscnt 0x0
	v_add_f32_e32 v9, v7, v9
	s_wait_alu 0xf1ff
	v_cndmask_b32_e64 v7, v7, v9, s3
	v_add_nc_u32_e32 v9, 4, v6
	ds_bpermute_b32 v2, v2, v7
	v_cmp_lt_u32_e64 s3, v9, v8
	s_wait_dscnt 0x0
	v_add_f32_e32 v2, v7, v2
	s_wait_alu 0xf1ff
	s_delay_alu instid0(VALU_DEP_1) | instskip(SKIP_3) | instid1(VALU_DEP_1)
	v_cndmask_b32_e64 v2, v7, v2, s3
	ds_bpermute_b32 v3, v3, v2
	s_wait_dscnt 0x0
	v_dual_add_f32 v3, v2, v3 :: v_dual_add_nc_u32 v6, 8, v6
	v_cmp_lt_u32_e64 s3, v6, v8
	s_wait_alu 0xf1ff
	s_delay_alu instid0(VALU_DEP_1) | instskip(NEXT) | instid1(VALU_DEP_1)
	v_cndmask_b32_e64 v2, v2, v3, s3
	v_cndmask_b32_e32 v5, v5, v2, vcc_lo
.LBB2_10:
	s_wait_alu 0xfffe
	s_or_b32 exec_lo, exec_lo, s14
	s_delay_alu instid0(SALU_CYCLE_1)
	s_mov_b32 s3, exec_lo
	v_cmpx_eq_u32_e32 0, v0
	s_cbranch_execz .LBB2_12
; %bb.11:
	s_cvt_f32_i32 s14, s12
	s_load_b32 s0, s[0:1], 0x28
	s_delay_alu instid0(SALU_CYCLE_2) | instskip(SKIP_1) | instid1(VALU_DEP_2)
	v_div_scale_f32 v2, null, s14, s14, v5
	v_div_scale_f32 v7, vcc_lo, v5, s14, v5
	v_rcp_f32_e32 v3, v2
	s_delay_alu instid0(TRANS32_DEP_1) | instskip(NEXT) | instid1(VALU_DEP_1)
	v_fma_f32 v6, -v2, v3, 1.0
	v_fmac_f32_e32 v3, v6, v3
	s_delay_alu instid0(VALU_DEP_1) | instskip(NEXT) | instid1(VALU_DEP_1)
	v_mul_f32_e32 v6, v7, v3
	v_fma_f32 v8, -v2, v6, v7
	s_delay_alu instid0(VALU_DEP_1) | instskip(NEXT) | instid1(VALU_DEP_1)
	v_fmac_f32_e32 v6, v8, v3
	v_fma_f32 v2, -v2, v6, v7
	s_wait_alu 0xfffd
	s_delay_alu instid0(VALU_DEP_1) | instskip(NEXT) | instid1(VALU_DEP_1)
	v_div_fmas_f32 v2, v2, v3, v6
	v_div_fixup_f32 v2, v2, s14, v5
	s_wait_kmcnt 0x0
	s_delay_alu instid0(VALU_DEP_1) | instskip(NEXT) | instid1(VALU_DEP_1)
	v_add_f32_e32 v2, s0, v2
	v_mul_f32_e32 v3, 0x4b800000, v2
	v_cmp_gt_f32_e32 vcc_lo, 0x800000, v2
	s_wait_alu 0xfffd
	s_delay_alu instid0(VALU_DEP_2) | instskip(NEXT) | instid1(VALU_DEP_1)
	v_cndmask_b32_e32 v2, v2, v3, vcc_lo
	v_rsq_f32_e32 v2, v2
	s_delay_alu instid0(TRANS32_DEP_1) | instskip(NEXT) | instid1(VALU_DEP_1)
	v_mul_f32_e32 v3, 0x45800000, v2
	v_dual_cndmask_b32 v2, v2, v3 :: v_dual_mov_b32 v3, 0
	ds_store_b32 v3, v2 offset:64
.LBB2_12:
	s_wait_alu 0xfffe
	s_or_b32 exec_lo, exec_lo, s3
	s_wait_loadcnt_dscnt 0x0
	s_barrier_signal -1
	s_barrier_wait -1
	global_inv scope:SCOPE_SE
	s_and_saveexec_b32 s0, s2
	s_cbranch_execz .LBB2_15
; %bb.13:
	s_wait_kmcnt 0x0
	s_load_b32 s0, s[6:7], 0x0
	s_mov_b32 s1, 0x43e00000
	s_wait_kmcnt 0x0
	v_div_scale_f32 v2, null, s0, s0, 1.0
	v_div_scale_f32 v7, vcc_lo, 1.0, s0, 1.0
	s_delay_alu instid0(VALU_DEP_2)
	v_rcp_f32_e32 v6, v2
	v_xor_b32_e32 v2, 0x80000000, v2
	s_delay_alu instid0(TRANS32_DEP_1) | instid1(VALU_DEP_1)
	v_fma_f32 v3, v2, v6, 1.0
	s_delay_alu instid0(VALU_DEP_1) | instskip(NEXT) | instid1(VALU_DEP_1)
	v_dual_fmac_f32 v6, v3, v6 :: v_dual_mov_b32 v3, 0
	v_mul_f32_e32 v8, v7, v6
	s_delay_alu instid0(VALU_DEP_1) | instskip(NEXT) | instid1(VALU_DEP_1)
	v_fma_f32 v5, v2, v8, v7
	v_fmac_f32_e32 v8, v5, v6
	ds_load_b32 v5, v3 offset:64
	v_fmac_f32_e32 v7, v2, v8
	s_wait_alu 0xfffd
	s_delay_alu instid0(VALU_DEP_1) | instskip(SKIP_2) | instid1(VALU_DEP_3)
	v_div_fmas_f32 v2, v7, v6, v8
	v_mul_lo_u32 v6, s13, v1
	v_mul_lo_u32 v7, s12, v1
	v_div_fixup_f32 v8, v2, s0, 1.0
	s_mov_b32 s0, 0
.LBB2_14:                               ; =>This Inner Loop Header: Depth=1
	s_delay_alu instid0(VALU_DEP_3) | instskip(SKIP_1) | instid1(VALU_DEP_2)
	v_add_nc_u32_e32 v2, v6, v0
	v_ashrrev_i32_e32 v1, 31, v0
	v_lshlrev_b64_e32 v[9:10], 1, v[2:3]
	s_delay_alu instid0(VALU_DEP_2) | instskip(NEXT) | instid1(VALU_DEP_2)
	v_lshlrev_b64_e32 v[1:2], 1, v[0:1]
	v_add_co_u32 v9, vcc_lo, s8, v9
	s_wait_alu 0xfffd
	s_delay_alu instid0(VALU_DEP_3) | instskip(NEXT) | instid1(VALU_DEP_3)
	v_add_co_ci_u32_e64 v10, null, s9, v10, vcc_lo
	v_add_co_u32 v1, vcc_lo, s4, v1
	s_wait_alu 0xfffd
	v_add_co_ci_u32_e64 v2, null, s5, v2, vcc_lo
	global_load_u16 v9, v[9:10], off
	global_load_u16 v1, v[1:2], off
	s_wait_loadcnt_dscnt 0x100
	v_fma_mixlo_f16 v2, v5, v9, 0 op_sel_hi:[0,1,0]
	v_mov_b32_e32 v9, v3
	s_wait_loadcnt 0x0
	s_delay_alu instid0(VALU_DEP_2) | instskip(NEXT) | instid1(VALU_DEP_1)
	v_mul_f16_e32 v1, v1, v2
	v_cvt_f32_f16_e32 v1, v1
	s_delay_alu instid0(VALU_DEP_1) | instskip(SKIP_1) | instid1(VALU_DEP_1)
	v_mul_f32_e32 v1, v8, v1
	s_wait_alu 0xfffe
	v_minmax_num_f32 v1, v1, s1, 0xc3e00000
	s_delay_alu instid0(VALU_DEP_1) | instskip(SKIP_3) | instid1(VALU_DEP_3)
	v_med3_num_f32 v2, v1, s1, 0xc3e00000
	v_cmp_nlg_f32_e64 vcc_lo, 0x7f800000, |v1|
	v_add_nc_u32_e32 v10, v7, v0
	s_wait_alu 0xfffd
	v_dual_cndmask_b32 v1, v2, v1 :: v_dual_add_nc_u32 v0, v0, v4
	s_delay_alu instid0(VALU_DEP_1) | instskip(NEXT) | instid1(VALU_DEP_2)
	v_cmp_le_i32_e32 vcc_lo, s12, v0
	v_cvt_pk_fp8_f32 v9, v1, v1
	s_or_b32 s0, vcc_lo, s0
	global_store_b8 v10, v9, s[10:11]
	s_wait_alu 0xfffe
	s_and_not1_b32 exec_lo, exec_lo, s0
	s_cbranch_execnz .LBB2_14
.LBB2_15:
	s_endpgm
	.section	.rodata,"a",@progbits
	.p2align	6, 0x0
	.amdhsa_kernel _ZN4vllm32rms_norm_static_fp8_quant_kernelIN3c104HalfENS1_13Float8_e4m3fnEEEvPT0_PKT_iS8_PKffii
		.amdhsa_group_segment_fixed_size 68
		.amdhsa_private_segment_fixed_size 0
		.amdhsa_kernarg_size 312
		.amdhsa_user_sgpr_count 2
		.amdhsa_user_sgpr_dispatch_ptr 0
		.amdhsa_user_sgpr_queue_ptr 0
		.amdhsa_user_sgpr_kernarg_segment_ptr 1
		.amdhsa_user_sgpr_dispatch_id 0
		.amdhsa_user_sgpr_private_segment_size 0
		.amdhsa_wavefront_size32 1
		.amdhsa_uses_dynamic_stack 0
		.amdhsa_enable_private_segment 0
		.amdhsa_system_sgpr_workgroup_id_x 1
		.amdhsa_system_sgpr_workgroup_id_y 0
		.amdhsa_system_sgpr_workgroup_id_z 0
		.amdhsa_system_sgpr_workgroup_info 0
		.amdhsa_system_vgpr_workitem_id 0
		.amdhsa_next_free_vgpr 12
		.amdhsa_next_free_sgpr 17
		.amdhsa_reserve_vcc 1
		.amdhsa_float_round_mode_32 0
		.amdhsa_float_round_mode_16_64 0
		.amdhsa_float_denorm_mode_32 3
		.amdhsa_float_denorm_mode_16_64 3
		.amdhsa_fp16_overflow 0
		.amdhsa_workgroup_processor_mode 1
		.amdhsa_memory_ordered 1
		.amdhsa_forward_progress 1
		.amdhsa_inst_pref_size 13
		.amdhsa_round_robin_scheduling 0
		.amdhsa_exception_fp_ieee_invalid_op 0
		.amdhsa_exception_fp_denorm_src 0
		.amdhsa_exception_fp_ieee_div_zero 0
		.amdhsa_exception_fp_ieee_overflow 0
		.amdhsa_exception_fp_ieee_underflow 0
		.amdhsa_exception_fp_ieee_inexact 0
		.amdhsa_exception_int_div_zero 0
	.end_amdhsa_kernel
	.section	.text._ZN4vllm32rms_norm_static_fp8_quant_kernelIN3c104HalfENS1_13Float8_e4m3fnEEEvPT0_PKT_iS8_PKffii,"axG",@progbits,_ZN4vllm32rms_norm_static_fp8_quant_kernelIN3c104HalfENS1_13Float8_e4m3fnEEEvPT0_PKT_iS8_PKffii,comdat
.Lfunc_end2:
	.size	_ZN4vllm32rms_norm_static_fp8_quant_kernelIN3c104HalfENS1_13Float8_e4m3fnEEEvPT0_PKT_iS8_PKffii, .Lfunc_end2-_ZN4vllm32rms_norm_static_fp8_quant_kernelIN3c104HalfENS1_13Float8_e4m3fnEEEvPT0_PKT_iS8_PKffii
                                        ; -- End function
	.set _ZN4vllm32rms_norm_static_fp8_quant_kernelIN3c104HalfENS1_13Float8_e4m3fnEEEvPT0_PKT_iS8_PKffii.num_vgpr, 12
	.set _ZN4vllm32rms_norm_static_fp8_quant_kernelIN3c104HalfENS1_13Float8_e4m3fnEEEvPT0_PKT_iS8_PKffii.num_agpr, 0
	.set _ZN4vllm32rms_norm_static_fp8_quant_kernelIN3c104HalfENS1_13Float8_e4m3fnEEEvPT0_PKT_iS8_PKffii.numbered_sgpr, 17
	.set _ZN4vllm32rms_norm_static_fp8_quant_kernelIN3c104HalfENS1_13Float8_e4m3fnEEEvPT0_PKT_iS8_PKffii.num_named_barrier, 0
	.set _ZN4vllm32rms_norm_static_fp8_quant_kernelIN3c104HalfENS1_13Float8_e4m3fnEEEvPT0_PKT_iS8_PKffii.private_seg_size, 0
	.set _ZN4vllm32rms_norm_static_fp8_quant_kernelIN3c104HalfENS1_13Float8_e4m3fnEEEvPT0_PKT_iS8_PKffii.uses_vcc, 1
	.set _ZN4vllm32rms_norm_static_fp8_quant_kernelIN3c104HalfENS1_13Float8_e4m3fnEEEvPT0_PKT_iS8_PKffii.uses_flat_scratch, 0
	.set _ZN4vllm32rms_norm_static_fp8_quant_kernelIN3c104HalfENS1_13Float8_e4m3fnEEEvPT0_PKT_iS8_PKffii.has_dyn_sized_stack, 0
	.set _ZN4vllm32rms_norm_static_fp8_quant_kernelIN3c104HalfENS1_13Float8_e4m3fnEEEvPT0_PKT_iS8_PKffii.has_recursion, 0
	.set _ZN4vllm32rms_norm_static_fp8_quant_kernelIN3c104HalfENS1_13Float8_e4m3fnEEEvPT0_PKT_iS8_PKffii.has_indirect_call, 0
	.section	.AMDGPU.csdata,"",@progbits
; Kernel info:
; codeLenInByte = 1616
; TotalNumSgprs: 19
; NumVgprs: 12
; ScratchSize: 0
; MemoryBound: 0
; FloatMode: 240
; IeeeMode: 1
; LDSByteSize: 68 bytes/workgroup (compile time only)
; SGPRBlocks: 0
; VGPRBlocks: 1
; NumSGPRsForWavesPerEU: 19
; NumVGPRsForWavesPerEU: 12
; Occupancy: 16
; WaveLimiterHint : 0
; COMPUTE_PGM_RSRC2:SCRATCH_EN: 0
; COMPUTE_PGM_RSRC2:USER_SGPR: 2
; COMPUTE_PGM_RSRC2:TRAP_HANDLER: 0
; COMPUTE_PGM_RSRC2:TGID_X_EN: 1
; COMPUTE_PGM_RSRC2:TGID_Y_EN: 0
; COMPUTE_PGM_RSRC2:TGID_Z_EN: 0
; COMPUTE_PGM_RSRC2:TIDIG_COMP_CNT: 0
	.section	.text._ZN4vllm32rms_norm_static_fp8_quant_kernelIN3c104HalfENS1_15Float8_e4m3fnuzEEEvPT0_PKT_iS8_PKffii,"axG",@progbits,_ZN4vllm32rms_norm_static_fp8_quant_kernelIN3c104HalfENS1_15Float8_e4m3fnuzEEEvPT0_PKT_iS8_PKffii,comdat
	.protected	_ZN4vllm32rms_norm_static_fp8_quant_kernelIN3c104HalfENS1_15Float8_e4m3fnuzEEEvPT0_PKT_iS8_PKffii ; -- Begin function _ZN4vllm32rms_norm_static_fp8_quant_kernelIN3c104HalfENS1_15Float8_e4m3fnuzEEEvPT0_PKT_iS8_PKffii
	.globl	_ZN4vllm32rms_norm_static_fp8_quant_kernelIN3c104HalfENS1_15Float8_e4m3fnuzEEEvPT0_PKT_iS8_PKffii
	.p2align	8
	.type	_ZN4vllm32rms_norm_static_fp8_quant_kernelIN3c104HalfENS1_15Float8_e4m3fnuzEEEvPT0_PKT_iS8_PKffii,@function
_ZN4vllm32rms_norm_static_fp8_quant_kernelIN3c104HalfENS1_15Float8_e4m3fnuzEEEvPT0_PKT_iS8_PKffii: ; @_ZN4vllm32rms_norm_static_fp8_quant_kernelIN3c104HalfENS1_15Float8_e4m3fnuzEEEvPT0_PKT_iS8_PKffii
; %bb.0:
	s_load_b32 s7, s[0:1], 0x30
	s_mov_b32 s3, exec_lo
                                        ; implicit-def: $sgpr4
	s_wait_kmcnt 0x0
	v_cmp_gt_i32_e64 s2, s7, v0
	v_cmpx_le_i32_e64 s7, v0
	s_xor_b32 s3, exec_lo, s3
	s_cbranch_execz .LBB3_2
; %bb.1:
	s_load_b32 s4, s[0:1], 0x44
	s_wait_kmcnt 0x0
	s_and_b32 s4, s4, 0xffff
.LBB3_2:
	s_or_saveexec_b32 s3, s3
	v_dual_mov_b32 v3, 0 :: v_dual_mov_b32 v2, s4
	s_xor_b32 exec_lo, exec_lo, s3
	s_cbranch_execz .LBB3_6
; %bb.3:
	s_clause 0x1
	s_load_b96 s[4:6], s[0:1], 0x8
	s_load_b32 s9, s[0:1], 0x44
	v_dual_mov_b32 v2, 0 :: v_dual_mov_b32 v3, 0
	v_mov_b32_e32 v4, v0
	s_wait_kmcnt 0x0
	s_mul_i32 s8, s6, ttmp9
	s_and_b32 s6, s9, 0xffff
	s_mov_b32 s9, 0
.LBB3_4:                                ; =>This Inner Loop Header: Depth=1
	v_add_nc_u32_e32 v1, s8, v4
	s_wait_alu 0xfffe
	v_add_nc_u32_e32 v4, s6, v4
	s_delay_alu instid0(VALU_DEP_2) | instskip(NEXT) | instid1(VALU_DEP_1)
	v_lshlrev_b64_e32 v[5:6], 1, v[1:2]
	v_add_co_u32 v5, vcc_lo, s4, v5
	s_wait_alu 0xfffd
	s_delay_alu instid0(VALU_DEP_2)
	v_add_co_ci_u32_e64 v6, null, s5, v6, vcc_lo
	v_cmp_le_i32_e32 vcc_lo, s7, v4
	global_load_u16 v1, v[5:6], off
	s_or_b32 s9, vcc_lo, s9
	s_wait_loadcnt 0x0
	v_fma_mix_f32 v3, v1, v1, v3 op_sel_hi:[1,1,0]
	s_wait_alu 0xfffe
	s_and_not1_b32 exec_lo, exec_lo, s9
	s_cbranch_execnz .LBB3_4
; %bb.5:
	s_or_b32 exec_lo, exec_lo, s9
	v_mov_b32_e32 v2, s6
.LBB3_6:
	s_or_b32 exec_lo, exec_lo, s3
	v_mbcnt_lo_u32_b32 v1, -1, 0
	v_and_b32_e32 v5, 0x3c0, v0
	s_mov_b32 s3, exec_lo
	s_delay_alu instid0(VALU_DEP_2) | instskip(NEXT) | instid1(VALU_DEP_2)
	v_cmp_ne_u32_e32 vcc_lo, 63, v1
	v_sub_nc_u32_e64 v5, v2, v5 clamp
	s_wait_alu 0xfffd
	v_add_co_ci_u32_e64 v4, null, 0, v1, vcc_lo
	v_cmp_gt_u32_e32 vcc_lo, 62, v1
	s_delay_alu instid0(VALU_DEP_2)
	v_lshlrev_b32_e32 v4, 2, v4
	s_wait_alu 0xfffd
	v_cndmask_b32_e64 v6, 0, 2, vcc_lo
	ds_bpermute_b32 v4, v4, v3
	v_add_nc_u32_e32 v7, 1, v1
	v_add_lshl_u32 v6, v6, v1, 2
	s_wait_dscnt 0x0
	v_add_f32_e32 v4, v3, v4
	s_delay_alu instid0(VALU_DEP_3) | instskip(SKIP_1) | instid1(VALU_DEP_2)
	v_cmp_lt_u32_e32 vcc_lo, v7, v5
	s_wait_alu 0xfffd
	v_cndmask_b32_e32 v3, v3, v4, vcc_lo
	v_cmp_gt_u32_e32 vcc_lo, 60, v1
	ds_bpermute_b32 v4, v6, v3
	v_add_nc_u32_e32 v7, 2, v1
	s_wait_alu 0xfffd
	v_cndmask_b32_e64 v6, 0, 4, vcc_lo
	s_delay_alu instid0(VALU_DEP_1) | instskip(SKIP_4) | instid1(VALU_DEP_2)
	v_add_lshl_u32 v6, v6, v1, 2
	s_wait_dscnt 0x0
	v_add_f32_e32 v4, v3, v4
	v_cmp_lt_u32_e32 vcc_lo, v7, v5
	s_wait_alu 0xfffd
	v_cndmask_b32_e32 v3, v3, v4, vcc_lo
	v_cmp_gt_u32_e32 vcc_lo, 56, v1
	ds_bpermute_b32 v4, v6, v3
	v_add_nc_u32_e32 v7, 4, v1
	s_wait_alu 0xfffd
	v_cndmask_b32_e64 v6, 0, 8, vcc_lo
	s_delay_alu instid0(VALU_DEP_1) | instskip(SKIP_4) | instid1(VALU_DEP_2)
	v_add_lshl_u32 v6, v6, v1, 2
	s_wait_dscnt 0x0
	v_add_f32_e32 v4, v3, v4
	;; [unrolled: 12-line block ×3, first 2 shown]
	v_cmp_lt_u32_e32 vcc_lo, v7, v5
	s_wait_alu 0xfffd
	v_cndmask_b32_e32 v4, v3, v4, vcc_lo
	ds_bpermute_b32 v3, v6, v4
	v_add_nc_u32_e32 v6, 16, v1
	s_delay_alu instid0(VALU_DEP_1) | instskip(SKIP_3) | instid1(VALU_DEP_1)
	v_cmp_lt_u32_e32 vcc_lo, v6, v5
	s_wait_dscnt 0x0
	v_add_f32_e32 v7, v4, v3
	s_wait_alu 0xfffd
	v_dual_cndmask_b32 v4, v4, v7 :: v_dual_lshlrev_b32 v3, 2, v1
	v_or_b32_e32 v7, 32, v1
	ds_bpermute_b32 v6, v3, v4 offset:128
	v_cmp_lt_u32_e32 vcc_lo, v7, v5
	s_wait_dscnt 0x0
	v_add_f32_e32 v6, v4, v6
	s_wait_alu 0xfffd
	s_delay_alu instid0(VALU_DEP_1)
	v_cndmask_b32_e32 v4, v4, v6, vcc_lo
	v_cmpx_eq_u32_e32 0, v1
; %bb.7:
	v_lshrrev_b32_e32 v5, 4, v0
	s_delay_alu instid0(VALU_DEP_1)
	v_and_b32_e32 v5, 60, v5
	ds_store_b32 v5, v4
; %bb.8:
	s_or_b32 exec_lo, exec_lo, s3
	s_delay_alu instid0(SALU_CYCLE_1)
	s_mov_b32 s4, exec_lo
	s_wait_dscnt 0x0
	s_barrier_signal -1
	s_barrier_wait -1
	global_inv scope:SCOPE_SE
	v_cmpx_gt_u32_e32 16, v0
	s_cbranch_execz .LBB3_10
; %bb.9:
	ds_load_b32 v4, v3
	v_and_b32_e32 v5, 15, v1
	v_add_nc_u32_e32 v2, 63, v2
	v_or_b32_e32 v3, 32, v3
	s_delay_alu instid0(VALU_DEP_3) | instskip(NEXT) | instid1(VALU_DEP_3)
	v_cmp_ne_u32_e32 vcc_lo, 15, v5
	v_lshrrev_b32_e32 v2, 6, v2
	s_wait_alu 0xfffd
	v_add_co_ci_u32_e64 v6, null, 0, v1, vcc_lo
	s_delay_alu instid0(VALU_DEP_1)
	v_lshlrev_b32_e32 v6, 2, v6
	s_wait_dscnt 0x0
	ds_bpermute_b32 v6, v6, v4
	s_wait_dscnt 0x0
	v_add_f32_e32 v6, v4, v6
	v_cmp_gt_u32_e32 vcc_lo, 14, v5
	v_add_nc_u32_e32 v8, 1, v5
	v_cmp_gt_u32_e64 s3, 12, v5
	v_add_nc_u32_e32 v9, 2, v5
	s_wait_alu 0xfffd
	v_cndmask_b32_e64 v7, 0, 2, vcc_lo
	v_cmp_lt_u32_e32 vcc_lo, v8, v2
	v_cndmask_b32_e64 v8, 0, 4, s3
	v_cmp_lt_u32_e64 s3, v9, v2
	s_delay_alu instid0(VALU_DEP_4)
	v_add_lshl_u32 v7, v7, v1, 2
	s_wait_alu 0xfffd
	v_cndmask_b32_e32 v6, v4, v6, vcc_lo
	v_add_lshl_u32 v1, v8, v1, 2
	ds_bpermute_b32 v7, v7, v6
	s_wait_dscnt 0x0
	v_add_f32_e32 v7, v6, v7
	s_wait_alu 0xf1ff
	s_delay_alu instid0(VALU_DEP_1)
	v_cndmask_b32_e64 v6, v6, v7, s3
	v_add_nc_u32_e32 v7, 4, v5
	v_add_nc_u32_e32 v5, 8, v5
	ds_bpermute_b32 v1, v1, v6
	v_cmp_lt_u32_e64 s3, v7, v2
	s_wait_dscnt 0x0
	v_add_f32_e32 v1, v6, v1
	s_wait_alu 0xf1ff
	s_delay_alu instid0(VALU_DEP_1)
	v_cndmask_b32_e64 v1, v6, v1, s3
	v_cmp_lt_u32_e64 s3, v5, v2
	ds_bpermute_b32 v3, v3, v1
	s_wait_dscnt 0x0
	v_add_f32_e32 v3, v1, v3
	s_wait_alu 0xf1ff
	s_delay_alu instid0(VALU_DEP_1) | instskip(NEXT) | instid1(VALU_DEP_1)
	v_cndmask_b32_e64 v1, v1, v3, s3
	v_cndmask_b32_e32 v4, v4, v1, vcc_lo
.LBB3_10:
	s_wait_alu 0xfffe
	s_or_b32 exec_lo, exec_lo, s4
	s_delay_alu instid0(SALU_CYCLE_1)
	s_mov_b32 s3, exec_lo
	v_cmpx_eq_u32_e32 0, v0
	s_cbranch_execz .LBB3_12
; %bb.11:
	s_cvt_f32_i32 s4, s7
	s_load_b32 s0, s[0:1], 0x28
	s_delay_alu instid0(SALU_CYCLE_2) | instskip(SKIP_1) | instid1(VALU_DEP_2)
	v_div_scale_f32 v0, null, s4, s4, v4
	v_div_scale_f32 v3, vcc_lo, v4, s4, v4
	v_rcp_f32_e32 v1, v0
	s_delay_alu instid0(TRANS32_DEP_1) | instskip(NEXT) | instid1(VALU_DEP_1)
	v_fma_f32 v2, -v0, v1, 1.0
	v_fmac_f32_e32 v1, v2, v1
	s_delay_alu instid0(VALU_DEP_1) | instskip(NEXT) | instid1(VALU_DEP_1)
	v_mul_f32_e32 v2, v3, v1
	v_fma_f32 v5, -v0, v2, v3
	s_delay_alu instid0(VALU_DEP_1) | instskip(NEXT) | instid1(VALU_DEP_1)
	v_fmac_f32_e32 v2, v5, v1
	v_fma_f32 v0, -v0, v2, v3
	s_wait_alu 0xfffd
	s_delay_alu instid0(VALU_DEP_1) | instskip(NEXT) | instid1(VALU_DEP_1)
	v_div_fmas_f32 v0, v0, v1, v2
	v_div_fixup_f32 v0, v0, s4, v4
	s_wait_kmcnt 0x0
	s_delay_alu instid0(VALU_DEP_1) | instskip(NEXT) | instid1(VALU_DEP_1)
	v_add_f32_e32 v0, s0, v0
	v_mul_f32_e32 v1, 0x4b800000, v0
	v_cmp_gt_f32_e32 vcc_lo, 0x800000, v0
	s_wait_alu 0xfffd
	s_delay_alu instid0(VALU_DEP_2) | instskip(NEXT) | instid1(VALU_DEP_1)
	v_cndmask_b32_e32 v0, v0, v1, vcc_lo
	v_rsq_f32_e32 v0, v0
	s_delay_alu instid0(TRANS32_DEP_1) | instskip(NEXT) | instid1(VALU_DEP_1)
	v_mul_f32_e32 v1, 0x45800000, v0
	v_dual_cndmask_b32 v0, v0, v1 :: v_dual_mov_b32 v1, 0
	ds_store_b32 v1, v0 offset:64
.LBB3_12:
	s_wait_alu 0xfffe
	s_or_b32 exec_lo, exec_lo, s3
	s_wait_loadcnt_dscnt 0x0
	s_barrier_signal -1
	s_barrier_wait -1
	global_inv scope:SCOPE_SE
	s_and_saveexec_b32 s0, s2
	s_cbranch_execnz .LBB3_14
; %bb.13:
	s_endpgm
.LBB3_14:
	s_trap 2
	; divergent unreachable
	s_endpgm
	.section	.rodata,"a",@progbits
	.p2align	6, 0x0
	.amdhsa_kernel _ZN4vllm32rms_norm_static_fp8_quant_kernelIN3c104HalfENS1_15Float8_e4m3fnuzEEEvPT0_PKT_iS8_PKffii
		.amdhsa_group_segment_fixed_size 68
		.amdhsa_private_segment_fixed_size 0
		.amdhsa_kernarg_size 312
		.amdhsa_user_sgpr_count 2
		.amdhsa_user_sgpr_dispatch_ptr 0
		.amdhsa_user_sgpr_queue_ptr 0
		.amdhsa_user_sgpr_kernarg_segment_ptr 1
		.amdhsa_user_sgpr_dispatch_id 0
		.amdhsa_user_sgpr_private_segment_size 0
		.amdhsa_wavefront_size32 1
		.amdhsa_uses_dynamic_stack 0
		.amdhsa_enable_private_segment 0
		.amdhsa_system_sgpr_workgroup_id_x 1
		.amdhsa_system_sgpr_workgroup_id_y 0
		.amdhsa_system_sgpr_workgroup_id_z 0
		.amdhsa_system_sgpr_workgroup_info 0
		.amdhsa_system_vgpr_workitem_id 0
		.amdhsa_next_free_vgpr 10
		.amdhsa_next_free_sgpr 10
		.amdhsa_reserve_vcc 1
		.amdhsa_float_round_mode_32 0
		.amdhsa_float_round_mode_16_64 0
		.amdhsa_float_denorm_mode_32 3
		.amdhsa_float_denorm_mode_16_64 3
		.amdhsa_fp16_overflow 0
		.amdhsa_workgroup_processor_mode 1
		.amdhsa_memory_ordered 1
		.amdhsa_forward_progress 1
		.amdhsa_inst_pref_size 10
		.amdhsa_round_robin_scheduling 0
		.amdhsa_exception_fp_ieee_invalid_op 0
		.amdhsa_exception_fp_denorm_src 0
		.amdhsa_exception_fp_ieee_div_zero 0
		.amdhsa_exception_fp_ieee_overflow 0
		.amdhsa_exception_fp_ieee_underflow 0
		.amdhsa_exception_fp_ieee_inexact 0
		.amdhsa_exception_int_div_zero 0
	.end_amdhsa_kernel
	.section	.text._ZN4vllm32rms_norm_static_fp8_quant_kernelIN3c104HalfENS1_15Float8_e4m3fnuzEEEvPT0_PKT_iS8_PKffii,"axG",@progbits,_ZN4vllm32rms_norm_static_fp8_quant_kernelIN3c104HalfENS1_15Float8_e4m3fnuzEEEvPT0_PKT_iS8_PKffii,comdat
.Lfunc_end3:
	.size	_ZN4vllm32rms_norm_static_fp8_quant_kernelIN3c104HalfENS1_15Float8_e4m3fnuzEEEvPT0_PKT_iS8_PKffii, .Lfunc_end3-_ZN4vllm32rms_norm_static_fp8_quant_kernelIN3c104HalfENS1_15Float8_e4m3fnuzEEEvPT0_PKT_iS8_PKffii
                                        ; -- End function
	.set _ZN4vllm32rms_norm_static_fp8_quant_kernelIN3c104HalfENS1_15Float8_e4m3fnuzEEEvPT0_PKT_iS8_PKffii.num_vgpr, 10
	.set _ZN4vllm32rms_norm_static_fp8_quant_kernelIN3c104HalfENS1_15Float8_e4m3fnuzEEEvPT0_PKT_iS8_PKffii.num_agpr, 0
	.set _ZN4vllm32rms_norm_static_fp8_quant_kernelIN3c104HalfENS1_15Float8_e4m3fnuzEEEvPT0_PKT_iS8_PKffii.numbered_sgpr, 10
	.set _ZN4vllm32rms_norm_static_fp8_quant_kernelIN3c104HalfENS1_15Float8_e4m3fnuzEEEvPT0_PKT_iS8_PKffii.num_named_barrier, 0
	.set _ZN4vllm32rms_norm_static_fp8_quant_kernelIN3c104HalfENS1_15Float8_e4m3fnuzEEEvPT0_PKT_iS8_PKffii.private_seg_size, 0
	.set _ZN4vllm32rms_norm_static_fp8_quant_kernelIN3c104HalfENS1_15Float8_e4m3fnuzEEEvPT0_PKT_iS8_PKffii.uses_vcc, 1
	.set _ZN4vllm32rms_norm_static_fp8_quant_kernelIN3c104HalfENS1_15Float8_e4m3fnuzEEEvPT0_PKT_iS8_PKffii.uses_flat_scratch, 0
	.set _ZN4vllm32rms_norm_static_fp8_quant_kernelIN3c104HalfENS1_15Float8_e4m3fnuzEEEvPT0_PKT_iS8_PKffii.has_dyn_sized_stack, 0
	.set _ZN4vllm32rms_norm_static_fp8_quant_kernelIN3c104HalfENS1_15Float8_e4m3fnuzEEEvPT0_PKT_iS8_PKffii.has_recursion, 0
	.set _ZN4vllm32rms_norm_static_fp8_quant_kernelIN3c104HalfENS1_15Float8_e4m3fnuzEEEvPT0_PKT_iS8_PKffii.has_indirect_call, 0
	.section	.AMDGPU.csdata,"",@progbits
; Kernel info:
; codeLenInByte = 1204
; TotalNumSgprs: 12
; NumVgprs: 10
; ScratchSize: 0
; MemoryBound: 0
; FloatMode: 240
; IeeeMode: 1
; LDSByteSize: 68 bytes/workgroup (compile time only)
; SGPRBlocks: 0
; VGPRBlocks: 1
; NumSGPRsForWavesPerEU: 12
; NumVGPRsForWavesPerEU: 10
; Occupancy: 16
; WaveLimiterHint : 0
; COMPUTE_PGM_RSRC2:SCRATCH_EN: 0
; COMPUTE_PGM_RSRC2:USER_SGPR: 2
; COMPUTE_PGM_RSRC2:TRAP_HANDLER: 0
; COMPUTE_PGM_RSRC2:TGID_X_EN: 1
; COMPUTE_PGM_RSRC2:TGID_Y_EN: 0
; COMPUTE_PGM_RSRC2:TGID_Z_EN: 0
; COMPUTE_PGM_RSRC2:TIDIG_COMP_CNT: 0
	.section	.text._ZN4vllm32rms_norm_static_fp8_quant_kernelIN3c108BFloat16ENS1_13Float8_e4m3fnEEEvPT0_PKT_iS8_PKffii,"axG",@progbits,_ZN4vllm32rms_norm_static_fp8_quant_kernelIN3c108BFloat16ENS1_13Float8_e4m3fnEEEvPT0_PKT_iS8_PKffii,comdat
	.protected	_ZN4vllm32rms_norm_static_fp8_quant_kernelIN3c108BFloat16ENS1_13Float8_e4m3fnEEEvPT0_PKT_iS8_PKffii ; -- Begin function _ZN4vllm32rms_norm_static_fp8_quant_kernelIN3c108BFloat16ENS1_13Float8_e4m3fnEEEvPT0_PKT_iS8_PKffii
	.globl	_ZN4vllm32rms_norm_static_fp8_quant_kernelIN3c108BFloat16ENS1_13Float8_e4m3fnEEEvPT0_PKT_iS8_PKffii
	.p2align	8
	.type	_ZN4vllm32rms_norm_static_fp8_quant_kernelIN3c108BFloat16ENS1_13Float8_e4m3fnEEEvPT0_PKT_iS8_PKffii,@function
_ZN4vllm32rms_norm_static_fp8_quant_kernelIN3c108BFloat16ENS1_13Float8_e4m3fnEEEvPT0_PKT_iS8_PKffii: ; @_ZN4vllm32rms_norm_static_fp8_quant_kernelIN3c108BFloat16ENS1_13Float8_e4m3fnEEEvPT0_PKT_iS8_PKffii
; %bb.0:
	s_clause 0x1
	s_load_b32 s12, s[0:1], 0x30
	s_load_b64 s[8:9], s[0:1], 0x8
	s_mov_b32 s3, exec_lo
                                        ; implicit-def: $sgpr14
                                        ; implicit-def: $sgpr15
	s_wait_kmcnt 0x0
	v_cmp_gt_i32_e64 s2, s12, v0
	v_cmpx_le_i32_e64 s12, v0
	s_xor_b32 s3, exec_lo, s3
	s_cbranch_execz .LBB4_2
; %bb.1:
	s_load_b32 s4, s[0:1], 0x44
	s_mov_b32 s14, ttmp9
	s_wait_kmcnt 0x0
	s_and_b32 s15, s4, 0xffff
.LBB4_2:
	s_or_saveexec_b32 s3, s3
	s_clause 0x2
	s_load_b128 s[4:7], s[0:1], 0x18
	s_load_b64 s[10:11], s[0:1], 0x0
	s_load_b32 s13, s[0:1], 0x10
	v_dual_mov_b32 v4, 0 :: v_dual_mov_b32 v1, s14
	v_mov_b32_e32 v3, s15
	s_xor_b32 exec_lo, exec_lo, s3
	s_cbranch_execz .LBB4_6
; %bb.3:
	s_load_b32 s14, s[0:1], 0x44
	v_dual_mov_b32 v2, 0 :: v_dual_mov_b32 v3, v0
	v_mov_b32_e32 v4, 0
	s_wait_kmcnt 0x0
	s_mul_i32 s15, s13, ttmp9
	s_mov_b32 s16, 0
	s_and_b32 s14, s14, 0xffff
.LBB4_4:                                ; =>This Inner Loop Header: Depth=1
	s_wait_alu 0xfffe
	v_add_nc_u32_e32 v1, s15, v3
	s_delay_alu instid0(VALU_DEP_1) | instskip(NEXT) | instid1(VALU_DEP_1)
	v_lshlrev_b64_e32 v[5:6], 1, v[1:2]
	v_add_co_u32 v5, vcc_lo, s8, v5
	s_wait_alu 0xfffd
	s_delay_alu instid0(VALU_DEP_2) | instskip(SKIP_3) | instid1(VALU_DEP_1)
	v_add_co_ci_u32_e64 v6, null, s9, v6, vcc_lo
	global_load_u16 v1, v[5:6], off
	s_wait_loadcnt 0x0
	v_lshlrev_b32_e32 v1, 16, v1
	v_dual_fmac_f32 v4, v1, v1 :: v_dual_add_nc_u32 v3, s14, v3
	s_delay_alu instid0(VALU_DEP_1) | instskip(SKIP_1) | instid1(SALU_CYCLE_1)
	v_cmp_le_i32_e32 vcc_lo, s12, v3
	s_or_b32 s16, vcc_lo, s16
	s_and_not1_b32 exec_lo, exec_lo, s16
	s_cbranch_execnz .LBB4_4
; %bb.5:
	s_or_b32 exec_lo, exec_lo, s16
	v_mov_b32_e32 v1, ttmp9
	v_mov_b32_e32 v3, s14
.LBB4_6:
	s_or_b32 exec_lo, exec_lo, s3
	v_mbcnt_lo_u32_b32 v2, -1, 0
	s_mov_b32 s3, exec_lo
	s_delay_alu instid0(VALU_DEP_1) | instskip(SKIP_4) | instid1(VALU_DEP_2)
	v_cmp_ne_u32_e32 vcc_lo, 63, v2
	v_add_nc_u32_e32 v8, 1, v2
	s_wait_alu 0xfffd
	v_add_co_ci_u32_e64 v5, null, 0, v2, vcc_lo
	v_cmp_gt_u32_e32 vcc_lo, 62, v2
	v_lshlrev_b32_e32 v5, 2, v5
	s_wait_alu 0xfffd
	v_cndmask_b32_e64 v7, 0, 2, vcc_lo
	ds_bpermute_b32 v5, v5, v4
	v_and_b32_e32 v6, 0x3c0, v0
	v_add_lshl_u32 v7, v7, v2, 2
	s_wait_dscnt 0x0
	v_add_f32_e32 v5, v4, v5
	s_delay_alu instid0(VALU_DEP_3) | instskip(NEXT) | instid1(VALU_DEP_1)
	v_sub_nc_u32_e64 v6, v3, v6 clamp
	v_cmp_lt_u32_e32 vcc_lo, v8, v6
	v_add_nc_u32_e32 v8, 2, v2
	s_wait_alu 0xfffd
	v_cndmask_b32_e32 v4, v4, v5, vcc_lo
	v_cmp_gt_u32_e32 vcc_lo, 60, v2
	ds_bpermute_b32 v5, v7, v4
	s_wait_alu 0xfffd
	v_cndmask_b32_e64 v7, 0, 4, vcc_lo
	v_cmp_lt_u32_e32 vcc_lo, v8, v6
	v_add_nc_u32_e32 v8, 4, v2
	s_delay_alu instid0(VALU_DEP_3) | instskip(SKIP_3) | instid1(VALU_DEP_1)
	v_add_lshl_u32 v7, v7, v2, 2
	s_wait_dscnt 0x0
	v_add_f32_e32 v5, v4, v5
	s_wait_alu 0xfffd
	v_cndmask_b32_e32 v4, v4, v5, vcc_lo
	v_cmp_gt_u32_e32 vcc_lo, 56, v2
	ds_bpermute_b32 v5, v7, v4
	s_wait_alu 0xfffd
	v_cndmask_b32_e64 v7, 0, 8, vcc_lo
	v_cmp_lt_u32_e32 vcc_lo, v8, v6
	s_delay_alu instid0(VALU_DEP_2) | instskip(SKIP_3) | instid1(VALU_DEP_1)
	v_add_lshl_u32 v7, v7, v2, 2
	s_wait_dscnt 0x0
	v_add_f32_e32 v5, v4, v5
	s_wait_alu 0xfffd
	v_cndmask_b32_e32 v4, v4, v5, vcc_lo
	v_cmp_gt_u32_e32 vcc_lo, 48, v2
	ds_bpermute_b32 v5, v7, v4
	s_wait_alu 0xfffd
	v_cndmask_b32_e64 v7, 0, 16, vcc_lo
	s_delay_alu instid0(VALU_DEP_1) | instskip(SKIP_2) | instid1(VALU_DEP_1)
	v_add_lshl_u32 v7, v7, v2, 2
	s_wait_dscnt 0x0
	v_dual_add_f32 v5, v4, v5 :: v_dual_add_nc_u32 v8, 8, v2
	v_cmp_lt_u32_e32 vcc_lo, v8, v6
	s_wait_alu 0xfffd
	s_delay_alu instid0(VALU_DEP_2) | instskip(SKIP_2) | instid1(VALU_DEP_1)
	v_cndmask_b32_e32 v5, v4, v5, vcc_lo
	ds_bpermute_b32 v4, v7, v5
	v_add_nc_u32_e32 v7, 16, v2
	v_cmp_lt_u32_e32 vcc_lo, v7, v6
	s_wait_dscnt 0x0
	v_add_f32_e32 v8, v5, v4
	s_wait_alu 0xfffd
	s_delay_alu instid0(VALU_DEP_1) | instskip(SKIP_1) | instid1(VALU_DEP_1)
	v_cndmask_b32_e32 v5, v5, v8, vcc_lo
	v_or_b32_e32 v8, 32, v2
	v_cmp_lt_u32_e32 vcc_lo, v8, v6
	v_lshlrev_b32_e32 v4, 2, v2
	ds_bpermute_b32 v7, v4, v5 offset:128
	s_wait_dscnt 0x0
	v_add_f32_e32 v7, v5, v7
	s_wait_alu 0xfffd
	s_delay_alu instid0(VALU_DEP_1)
	v_cndmask_b32_e32 v5, v5, v7, vcc_lo
	v_cmpx_eq_u32_e32 0, v2
; %bb.7:
	v_lshrrev_b32_e32 v6, 4, v0
	s_delay_alu instid0(VALU_DEP_1)
	v_and_b32_e32 v6, 60, v6
	ds_store_b32 v6, v5
; %bb.8:
	s_or_b32 exec_lo, exec_lo, s3
	s_delay_alu instid0(SALU_CYCLE_1)
	s_mov_b32 s14, exec_lo
	s_wait_dscnt 0x0
	s_barrier_signal -1
	s_barrier_wait -1
	global_inv scope:SCOPE_SE
	v_cmpx_gt_u32_e32 16, v0
	s_cbranch_execz .LBB4_10
; %bb.9:
	ds_load_b32 v5, v4
	v_and_b32_e32 v6, 15, v2
	v_add_nc_u32_e32 v8, 63, v3
	v_or_b32_e32 v4, 32, v4
	s_delay_alu instid0(VALU_DEP_3) | instskip(NEXT) | instid1(VALU_DEP_3)
	v_cmp_ne_u32_e32 vcc_lo, 15, v6
	v_lshrrev_b32_e32 v8, 6, v8
	s_wait_alu 0xfffd
	v_add_co_ci_u32_e64 v7, null, 0, v2, vcc_lo
	s_delay_alu instid0(VALU_DEP_1)
	v_lshlrev_b32_e32 v7, 2, v7
	s_wait_dscnt 0x0
	ds_bpermute_b32 v7, v7, v5
	s_wait_dscnt 0x0
	v_add_f32_e32 v7, v5, v7
	v_cmp_gt_u32_e32 vcc_lo, 14, v6
	v_add_nc_u32_e32 v10, 1, v6
	v_cmp_gt_u32_e64 s3, 12, v6
	v_add_nc_u32_e32 v11, 2, v6
	s_wait_alu 0xfffd
	v_cndmask_b32_e64 v9, 0, 2, vcc_lo
	v_cmp_lt_u32_e32 vcc_lo, v10, v8
	v_cndmask_b32_e64 v10, 0, 4, s3
	v_cmp_lt_u32_e64 s3, v11, v8
	s_delay_alu instid0(VALU_DEP_4)
	v_add_lshl_u32 v9, v9, v2, 2
	s_wait_alu 0xfffd
	v_cndmask_b32_e32 v7, v5, v7, vcc_lo
	v_add_lshl_u32 v2, v10, v2, 2
	ds_bpermute_b32 v9, v9, v7
	s_wait_dscnt 0x0
	v_add_f32_e32 v9, v7, v9
	s_wait_alu 0xf1ff
	s_delay_alu instid0(VALU_DEP_1)
	v_cndmask_b32_e64 v7, v7, v9, s3
	v_add_nc_u32_e32 v9, 4, v6
	v_add_nc_u32_e32 v6, 8, v6
	ds_bpermute_b32 v2, v2, v7
	v_cmp_lt_u32_e64 s3, v9, v8
	s_wait_dscnt 0x0
	v_add_f32_e32 v2, v7, v2
	s_wait_alu 0xf1ff
	s_delay_alu instid0(VALU_DEP_1)
	v_cndmask_b32_e64 v2, v7, v2, s3
	v_cmp_lt_u32_e64 s3, v6, v8
	ds_bpermute_b32 v4, v4, v2
	s_wait_dscnt 0x0
	v_add_f32_e32 v4, v2, v4
	s_wait_alu 0xf1ff
	s_delay_alu instid0(VALU_DEP_1) | instskip(NEXT) | instid1(VALU_DEP_1)
	v_cndmask_b32_e64 v2, v2, v4, s3
	v_cndmask_b32_e32 v5, v5, v2, vcc_lo
.LBB4_10:
	s_wait_alu 0xfffe
	s_or_b32 exec_lo, exec_lo, s14
	s_delay_alu instid0(SALU_CYCLE_1)
	s_mov_b32 s3, exec_lo
	v_cmpx_eq_u32_e32 0, v0
	s_cbranch_execz .LBB4_12
; %bb.11:
	s_cvt_f32_i32 s14, s12
	s_load_b32 s0, s[0:1], 0x28
	s_delay_alu instid0(SALU_CYCLE_2) | instskip(SKIP_1) | instid1(VALU_DEP_2)
	v_div_scale_f32 v2, null, s14, s14, v5
	v_div_scale_f32 v7, vcc_lo, v5, s14, v5
	v_rcp_f32_e32 v4, v2
	s_delay_alu instid0(TRANS32_DEP_1) | instskip(NEXT) | instid1(VALU_DEP_1)
	v_fma_f32 v6, -v2, v4, 1.0
	v_fmac_f32_e32 v4, v6, v4
	s_delay_alu instid0(VALU_DEP_1) | instskip(NEXT) | instid1(VALU_DEP_1)
	v_mul_f32_e32 v6, v7, v4
	v_fma_f32 v8, -v2, v6, v7
	s_delay_alu instid0(VALU_DEP_1) | instskip(NEXT) | instid1(VALU_DEP_1)
	v_fmac_f32_e32 v6, v8, v4
	v_fma_f32 v2, -v2, v6, v7
	s_wait_alu 0xfffd
	s_delay_alu instid0(VALU_DEP_1) | instskip(NEXT) | instid1(VALU_DEP_1)
	v_div_fmas_f32 v2, v2, v4, v6
	v_div_fixup_f32 v2, v2, s14, v5
	s_wait_kmcnt 0x0
	s_delay_alu instid0(VALU_DEP_1) | instskip(NEXT) | instid1(VALU_DEP_1)
	v_add_f32_e32 v2, s0, v2
	v_mul_f32_e32 v4, 0x4b800000, v2
	v_cmp_gt_f32_e32 vcc_lo, 0x800000, v2
	s_wait_alu 0xfffd
	s_delay_alu instid0(VALU_DEP_2) | instskip(NEXT) | instid1(VALU_DEP_1)
	v_cndmask_b32_e32 v2, v2, v4, vcc_lo
	v_rsq_f32_e32 v2, v2
	s_delay_alu instid0(TRANS32_DEP_1) | instskip(NEXT) | instid1(VALU_DEP_1)
	v_mul_f32_e32 v4, 0x45800000, v2
	v_cndmask_b32_e32 v2, v2, v4, vcc_lo
	v_mov_b32_e32 v4, 0
	ds_store_b32 v4, v2 offset:64
.LBB4_12:
	s_wait_alu 0xfffe
	s_or_b32 exec_lo, exec_lo, s3
	s_wait_loadcnt_dscnt 0x0
	s_barrier_signal -1
	s_barrier_wait -1
	global_inv scope:SCOPE_SE
	s_and_saveexec_b32 s0, s2
	s_cbranch_execz .LBB4_15
; %bb.13:
	s_wait_kmcnt 0x0
	s_load_b32 s0, s[6:7], 0x0
	s_mov_b32 s1, 0x43e00000
	s_wait_kmcnt 0x0
	v_div_scale_f32 v2, null, s0, s0, 1.0
	v_div_scale_f32 v7, vcc_lo, 1.0, s0, 1.0
	s_delay_alu instid0(VALU_DEP_2)
	v_rcp_f32_e32 v5, v2
	v_xor_b32_e32 v6, 0x80000000, v2
	s_delay_alu instid0(TRANS32_DEP_1) | instid1(VALU_DEP_1)
	v_fma_f32 v2, v6, v5, 1.0
	s_delay_alu instid0(VALU_DEP_1) | instskip(NEXT) | instid1(VALU_DEP_1)
	v_dual_fmac_f32 v5, v2, v5 :: v_dual_mov_b32 v2, 0
	v_mul_f32_e32 v8, v7, v5
	s_delay_alu instid0(VALU_DEP_1) | instskip(NEXT) | instid1(VALU_DEP_1)
	v_fma_f32 v4, v6, v8, v7
	v_fmac_f32_e32 v8, v4, v5
	ds_load_b32 v4, v2 offset:64
	v_fmac_f32_e32 v7, v6, v8
	v_mul_lo_u32 v6, s12, v1
	s_wait_alu 0xfffd
	s_delay_alu instid0(VALU_DEP_2) | instskip(SKIP_1) | instid1(VALU_DEP_2)
	v_div_fmas_f32 v7, v7, v5, v8
	v_mul_lo_u32 v5, s13, v1
	v_div_fixup_f32 v7, v7, s0, 1.0
	s_mov_b32 s0, 0
.LBB4_14:                               ; =>This Inner Loop Header: Depth=1
	s_delay_alu instid0(VALU_DEP_2) | instskip(NEXT) | instid1(VALU_DEP_1)
	v_add_nc_u32_e32 v1, v5, v0
	v_lshlrev_b64_e32 v[8:9], 1, v[1:2]
	v_ashrrev_i32_e32 v1, 31, v0
	s_delay_alu instid0(VALU_DEP_2) | instskip(SKIP_1) | instid1(VALU_DEP_3)
	v_add_co_u32 v8, vcc_lo, s8, v8
	s_wait_alu 0xfffd
	v_add_co_ci_u32_e64 v9, null, s9, v9, vcc_lo
	global_load_u16 v10, v[8:9], off
	v_lshlrev_b64_e32 v[8:9], 1, v[0:1]
	s_delay_alu instid0(VALU_DEP_1) | instskip(SKIP_1) | instid1(VALU_DEP_2)
	v_add_co_u32 v8, vcc_lo, s4, v8
	s_wait_alu 0xfffd
	v_add_co_ci_u32_e64 v9, null, s5, v9, vcc_lo
	global_load_u16 v1, v[8:9], off
	s_wait_loadcnt 0x1
	v_lshlrev_b32_e32 v8, 16, v10
	v_add_nc_u32_e32 v10, v6, v0
	v_add_nc_u32_e32 v0, v0, v3
	s_wait_dscnt 0x0
	s_delay_alu instid0(VALU_DEP_3) | instskip(NEXT) | instid1(VALU_DEP_1)
	v_mul_f32_e32 v8, v4, v8
	v_bfe_u32 v9, v8, 16, 1
	s_wait_loadcnt 0x0
	v_lshlrev_b32_e32 v1, 16, v1
	s_delay_alu instid0(VALU_DEP_2) | instskip(NEXT) | instid1(VALU_DEP_1)
	v_add3_u32 v9, v8, v9, 0x7fff
	v_and_b32_e32 v9, 0xffff0000, v9
	v_cmp_o_f32_e32 vcc_lo, v8, v8
	s_wait_alu 0xfffd
	s_delay_alu instid0(VALU_DEP_2) | instskip(NEXT) | instid1(VALU_DEP_1)
	v_dual_cndmask_b32 v8, 0x7fc00000, v9 :: v_dual_mov_b32 v9, v2
	v_mul_f32_e32 v1, v8, v1
	s_delay_alu instid0(VALU_DEP_1) | instskip(NEXT) | instid1(VALU_DEP_1)
	v_bfe_u32 v8, v1, 16, 1
	v_add3_u32 v8, v1, v8, 0x7fff
	s_delay_alu instid0(VALU_DEP_1) | instskip(SKIP_2) | instid1(VALU_DEP_2)
	v_and_b32_e32 v8, 0xffff0000, v8
	v_cmp_o_f32_e32 vcc_lo, v1, v1
	s_wait_alu 0xfffd
	v_cndmask_b32_e32 v1, 0x7fc00000, v8, vcc_lo
	s_delay_alu instid0(VALU_DEP_1) | instskip(SKIP_1) | instid1(VALU_DEP_1)
	v_mul_f32_e32 v1, v7, v1
	s_wait_alu 0xfffe
	v_minmax_num_f32 v1, v1, s1, 0xc3e00000
	s_delay_alu instid0(VALU_DEP_1) | instskip(SKIP_2) | instid1(VALU_DEP_2)
	v_med3_num_f32 v8, v1, s1, 0xc3e00000
	v_cmp_nlg_f32_e64 vcc_lo, 0x7f800000, |v1|
	s_wait_alu 0xfffd
	v_cndmask_b32_e32 v1, v8, v1, vcc_lo
	v_cmp_le_i32_e32 vcc_lo, s12, v0
	s_delay_alu instid0(VALU_DEP_2)
	v_cvt_pk_fp8_f32 v9, v1, v1
	s_or_b32 s0, vcc_lo, s0
	global_store_b8 v10, v9, s[10:11]
	s_wait_alu 0xfffe
	s_and_not1_b32 exec_lo, exec_lo, s0
	s_cbranch_execnz .LBB4_14
.LBB4_15:
	s_endpgm
	.section	.rodata,"a",@progbits
	.p2align	6, 0x0
	.amdhsa_kernel _ZN4vllm32rms_norm_static_fp8_quant_kernelIN3c108BFloat16ENS1_13Float8_e4m3fnEEEvPT0_PKT_iS8_PKffii
		.amdhsa_group_segment_fixed_size 68
		.amdhsa_private_segment_fixed_size 0
		.amdhsa_kernarg_size 312
		.amdhsa_user_sgpr_count 2
		.amdhsa_user_sgpr_dispatch_ptr 0
		.amdhsa_user_sgpr_queue_ptr 0
		.amdhsa_user_sgpr_kernarg_segment_ptr 1
		.amdhsa_user_sgpr_dispatch_id 0
		.amdhsa_user_sgpr_private_segment_size 0
		.amdhsa_wavefront_size32 1
		.amdhsa_uses_dynamic_stack 0
		.amdhsa_enable_private_segment 0
		.amdhsa_system_sgpr_workgroup_id_x 1
		.amdhsa_system_sgpr_workgroup_id_y 0
		.amdhsa_system_sgpr_workgroup_id_z 0
		.amdhsa_system_sgpr_workgroup_info 0
		.amdhsa_system_vgpr_workitem_id 0
		.amdhsa_next_free_vgpr 12
		.amdhsa_next_free_sgpr 17
		.amdhsa_reserve_vcc 1
		.amdhsa_float_round_mode_32 0
		.amdhsa_float_round_mode_16_64 0
		.amdhsa_float_denorm_mode_32 3
		.amdhsa_float_denorm_mode_16_64 3
		.amdhsa_fp16_overflow 0
		.amdhsa_workgroup_processor_mode 1
		.amdhsa_memory_ordered 1
		.amdhsa_forward_progress 1
		.amdhsa_inst_pref_size 14
		.amdhsa_round_robin_scheduling 0
		.amdhsa_exception_fp_ieee_invalid_op 0
		.amdhsa_exception_fp_denorm_src 0
		.amdhsa_exception_fp_ieee_div_zero 0
		.amdhsa_exception_fp_ieee_overflow 0
		.amdhsa_exception_fp_ieee_underflow 0
		.amdhsa_exception_fp_ieee_inexact 0
		.amdhsa_exception_int_div_zero 0
	.end_amdhsa_kernel
	.section	.text._ZN4vllm32rms_norm_static_fp8_quant_kernelIN3c108BFloat16ENS1_13Float8_e4m3fnEEEvPT0_PKT_iS8_PKffii,"axG",@progbits,_ZN4vllm32rms_norm_static_fp8_quant_kernelIN3c108BFloat16ENS1_13Float8_e4m3fnEEEvPT0_PKT_iS8_PKffii,comdat
.Lfunc_end4:
	.size	_ZN4vllm32rms_norm_static_fp8_quant_kernelIN3c108BFloat16ENS1_13Float8_e4m3fnEEEvPT0_PKT_iS8_PKffii, .Lfunc_end4-_ZN4vllm32rms_norm_static_fp8_quant_kernelIN3c108BFloat16ENS1_13Float8_e4m3fnEEEvPT0_PKT_iS8_PKffii
                                        ; -- End function
	.set _ZN4vllm32rms_norm_static_fp8_quant_kernelIN3c108BFloat16ENS1_13Float8_e4m3fnEEEvPT0_PKT_iS8_PKffii.num_vgpr, 12
	.set _ZN4vllm32rms_norm_static_fp8_quant_kernelIN3c108BFloat16ENS1_13Float8_e4m3fnEEEvPT0_PKT_iS8_PKffii.num_agpr, 0
	.set _ZN4vllm32rms_norm_static_fp8_quant_kernelIN3c108BFloat16ENS1_13Float8_e4m3fnEEEvPT0_PKT_iS8_PKffii.numbered_sgpr, 17
	.set _ZN4vllm32rms_norm_static_fp8_quant_kernelIN3c108BFloat16ENS1_13Float8_e4m3fnEEEvPT0_PKT_iS8_PKffii.num_named_barrier, 0
	.set _ZN4vllm32rms_norm_static_fp8_quant_kernelIN3c108BFloat16ENS1_13Float8_e4m3fnEEEvPT0_PKT_iS8_PKffii.private_seg_size, 0
	.set _ZN4vllm32rms_norm_static_fp8_quant_kernelIN3c108BFloat16ENS1_13Float8_e4m3fnEEEvPT0_PKT_iS8_PKffii.uses_vcc, 1
	.set _ZN4vllm32rms_norm_static_fp8_quant_kernelIN3c108BFloat16ENS1_13Float8_e4m3fnEEEvPT0_PKT_iS8_PKffii.uses_flat_scratch, 0
	.set _ZN4vllm32rms_norm_static_fp8_quant_kernelIN3c108BFloat16ENS1_13Float8_e4m3fnEEEvPT0_PKT_iS8_PKffii.has_dyn_sized_stack, 0
	.set _ZN4vllm32rms_norm_static_fp8_quant_kernelIN3c108BFloat16ENS1_13Float8_e4m3fnEEEvPT0_PKT_iS8_PKffii.has_recursion, 0
	.set _ZN4vllm32rms_norm_static_fp8_quant_kernelIN3c108BFloat16ENS1_13Float8_e4m3fnEEEvPT0_PKT_iS8_PKffii.has_indirect_call, 0
	.section	.AMDGPU.csdata,"",@progbits
; Kernel info:
; codeLenInByte = 1736
; TotalNumSgprs: 19
; NumVgprs: 12
; ScratchSize: 0
; MemoryBound: 0
; FloatMode: 240
; IeeeMode: 1
; LDSByteSize: 68 bytes/workgroup (compile time only)
; SGPRBlocks: 0
; VGPRBlocks: 1
; NumSGPRsForWavesPerEU: 19
; NumVGPRsForWavesPerEU: 12
; Occupancy: 16
; WaveLimiterHint : 0
; COMPUTE_PGM_RSRC2:SCRATCH_EN: 0
; COMPUTE_PGM_RSRC2:USER_SGPR: 2
; COMPUTE_PGM_RSRC2:TRAP_HANDLER: 0
; COMPUTE_PGM_RSRC2:TGID_X_EN: 1
; COMPUTE_PGM_RSRC2:TGID_Y_EN: 0
; COMPUTE_PGM_RSRC2:TGID_Z_EN: 0
; COMPUTE_PGM_RSRC2:TIDIG_COMP_CNT: 0
	.section	.text._ZN4vllm32rms_norm_static_fp8_quant_kernelIN3c108BFloat16ENS1_15Float8_e4m3fnuzEEEvPT0_PKT_iS8_PKffii,"axG",@progbits,_ZN4vllm32rms_norm_static_fp8_quant_kernelIN3c108BFloat16ENS1_15Float8_e4m3fnuzEEEvPT0_PKT_iS8_PKffii,comdat
	.protected	_ZN4vllm32rms_norm_static_fp8_quant_kernelIN3c108BFloat16ENS1_15Float8_e4m3fnuzEEEvPT0_PKT_iS8_PKffii ; -- Begin function _ZN4vllm32rms_norm_static_fp8_quant_kernelIN3c108BFloat16ENS1_15Float8_e4m3fnuzEEEvPT0_PKT_iS8_PKffii
	.globl	_ZN4vllm32rms_norm_static_fp8_quant_kernelIN3c108BFloat16ENS1_15Float8_e4m3fnuzEEEvPT0_PKT_iS8_PKffii
	.p2align	8
	.type	_ZN4vllm32rms_norm_static_fp8_quant_kernelIN3c108BFloat16ENS1_15Float8_e4m3fnuzEEEvPT0_PKT_iS8_PKffii,@function
_ZN4vllm32rms_norm_static_fp8_quant_kernelIN3c108BFloat16ENS1_15Float8_e4m3fnuzEEEvPT0_PKT_iS8_PKffii: ; @_ZN4vllm32rms_norm_static_fp8_quant_kernelIN3c108BFloat16ENS1_15Float8_e4m3fnuzEEEvPT0_PKT_iS8_PKffii
; %bb.0:
	s_load_b32 s7, s[0:1], 0x30
	s_mov_b32 s3, exec_lo
                                        ; implicit-def: $sgpr4
	s_wait_kmcnt 0x0
	v_cmp_gt_i32_e64 s2, s7, v0
	v_cmpx_le_i32_e64 s7, v0
	s_xor_b32 s3, exec_lo, s3
	s_cbranch_execz .LBB5_2
; %bb.1:
	s_load_b32 s4, s[0:1], 0x44
	s_wait_kmcnt 0x0
	s_and_b32 s4, s4, 0xffff
.LBB5_2:
	s_or_saveexec_b32 s3, s3
	v_dual_mov_b32 v3, 0 :: v_dual_mov_b32 v2, s4
	s_xor_b32 exec_lo, exec_lo, s3
	s_cbranch_execz .LBB5_6
; %bb.3:
	s_clause 0x1
	s_load_b96 s[4:6], s[0:1], 0x8
	s_load_b32 s9, s[0:1], 0x44
	v_dual_mov_b32 v2, 0 :: v_dual_mov_b32 v3, 0
	v_mov_b32_e32 v4, v0
	s_wait_kmcnt 0x0
	s_mul_i32 s8, s6, ttmp9
	s_and_b32 s6, s9, 0xffff
	s_mov_b32 s9, 0
.LBB5_4:                                ; =>This Inner Loop Header: Depth=1
	v_add_nc_u32_e32 v1, s8, v4
	s_delay_alu instid0(VALU_DEP_1) | instskip(NEXT) | instid1(VALU_DEP_1)
	v_lshlrev_b64_e32 v[5:6], 1, v[1:2]
	v_add_co_u32 v5, vcc_lo, s4, v5
	s_wait_alu 0xfffd
	s_delay_alu instid0(VALU_DEP_2) | instskip(SKIP_4) | instid1(VALU_DEP_1)
	v_add_co_ci_u32_e64 v6, null, s5, v6, vcc_lo
	global_load_u16 v1, v[5:6], off
	s_wait_loadcnt 0x0
	v_lshlrev_b32_e32 v1, 16, v1
	s_wait_alu 0xfffe
	v_dual_fmac_f32 v3, v1, v1 :: v_dual_add_nc_u32 v4, s6, v4
	s_delay_alu instid0(VALU_DEP_1)
	v_cmp_le_i32_e32 vcc_lo, s7, v4
	s_or_b32 s9, vcc_lo, s9
	s_wait_alu 0xfffe
	s_and_not1_b32 exec_lo, exec_lo, s9
	s_cbranch_execnz .LBB5_4
; %bb.5:
	s_or_b32 exec_lo, exec_lo, s9
	v_mov_b32_e32 v2, s6
.LBB5_6:
	s_or_b32 exec_lo, exec_lo, s3
	v_mbcnt_lo_u32_b32 v1, -1, 0
	v_and_b32_e32 v5, 0x3c0, v0
	s_mov_b32 s3, exec_lo
	s_delay_alu instid0(VALU_DEP_2) | instskip(NEXT) | instid1(VALU_DEP_2)
	v_cmp_ne_u32_e32 vcc_lo, 63, v1
	v_sub_nc_u32_e64 v5, v2, v5 clamp
	s_wait_alu 0xfffd
	v_add_co_ci_u32_e64 v4, null, 0, v1, vcc_lo
	v_cmp_gt_u32_e32 vcc_lo, 62, v1
	s_delay_alu instid0(VALU_DEP_2)
	v_lshlrev_b32_e32 v4, 2, v4
	s_wait_alu 0xfffd
	v_cndmask_b32_e64 v6, 0, 2, vcc_lo
	ds_bpermute_b32 v4, v4, v3
	v_add_nc_u32_e32 v7, 1, v1
	v_add_lshl_u32 v6, v6, v1, 2
	s_wait_dscnt 0x0
	v_add_f32_e32 v4, v3, v4
	s_delay_alu instid0(VALU_DEP_3) | instskip(SKIP_1) | instid1(VALU_DEP_2)
	v_cmp_lt_u32_e32 vcc_lo, v7, v5
	s_wait_alu 0xfffd
	v_cndmask_b32_e32 v3, v3, v4, vcc_lo
	v_cmp_gt_u32_e32 vcc_lo, 60, v1
	ds_bpermute_b32 v4, v6, v3
	v_add_nc_u32_e32 v7, 2, v1
	s_wait_alu 0xfffd
	v_cndmask_b32_e64 v6, 0, 4, vcc_lo
	s_delay_alu instid0(VALU_DEP_1) | instskip(SKIP_4) | instid1(VALU_DEP_2)
	v_add_lshl_u32 v6, v6, v1, 2
	s_wait_dscnt 0x0
	v_add_f32_e32 v4, v3, v4
	v_cmp_lt_u32_e32 vcc_lo, v7, v5
	s_wait_alu 0xfffd
	v_cndmask_b32_e32 v3, v3, v4, vcc_lo
	v_cmp_gt_u32_e32 vcc_lo, 56, v1
	ds_bpermute_b32 v4, v6, v3
	v_add_nc_u32_e32 v7, 4, v1
	s_wait_alu 0xfffd
	v_cndmask_b32_e64 v6, 0, 8, vcc_lo
	s_delay_alu instid0(VALU_DEP_1) | instskip(SKIP_4) | instid1(VALU_DEP_2)
	v_add_lshl_u32 v6, v6, v1, 2
	s_wait_dscnt 0x0
	v_add_f32_e32 v4, v3, v4
	v_cmp_lt_u32_e32 vcc_lo, v7, v5
	s_wait_alu 0xfffd
	v_cndmask_b32_e32 v3, v3, v4, vcc_lo
	v_cmp_gt_u32_e32 vcc_lo, 48, v1
	ds_bpermute_b32 v4, v6, v3
	v_add_nc_u32_e32 v7, 8, v1
	s_wait_alu 0xfffd
	v_cndmask_b32_e64 v6, 0, 16, vcc_lo
	s_delay_alu instid0(VALU_DEP_1) | instskip(SKIP_4) | instid1(VALU_DEP_2)
	v_add_lshl_u32 v6, v6, v1, 2
	s_wait_dscnt 0x0
	v_add_f32_e32 v4, v3, v4
	v_cmp_lt_u32_e32 vcc_lo, v7, v5
	s_wait_alu 0xfffd
	v_cndmask_b32_e32 v4, v3, v4, vcc_lo
	ds_bpermute_b32 v3, v6, v4
	v_add_nc_u32_e32 v6, 16, v1
	s_delay_alu instid0(VALU_DEP_1) | instskip(SKIP_3) | instid1(VALU_DEP_1)
	v_cmp_lt_u32_e32 vcc_lo, v6, v5
	s_wait_dscnt 0x0
	v_add_f32_e32 v7, v4, v3
	s_wait_alu 0xfffd
	v_dual_cndmask_b32 v4, v4, v7 :: v_dual_lshlrev_b32 v3, 2, v1
	v_or_b32_e32 v7, 32, v1
	ds_bpermute_b32 v6, v3, v4 offset:128
	v_cmp_lt_u32_e32 vcc_lo, v7, v5
	s_wait_dscnt 0x0
	v_add_f32_e32 v6, v4, v6
	s_wait_alu 0xfffd
	s_delay_alu instid0(VALU_DEP_1)
	v_cndmask_b32_e32 v4, v4, v6, vcc_lo
	v_cmpx_eq_u32_e32 0, v1
; %bb.7:
	v_lshrrev_b32_e32 v5, 4, v0
	s_delay_alu instid0(VALU_DEP_1)
	v_and_b32_e32 v5, 60, v5
	ds_store_b32 v5, v4
; %bb.8:
	s_or_b32 exec_lo, exec_lo, s3
	s_delay_alu instid0(SALU_CYCLE_1)
	s_mov_b32 s4, exec_lo
	s_wait_dscnt 0x0
	s_barrier_signal -1
	s_barrier_wait -1
	global_inv scope:SCOPE_SE
	v_cmpx_gt_u32_e32 16, v0
	s_cbranch_execz .LBB5_10
; %bb.9:
	ds_load_b32 v4, v3
	v_and_b32_e32 v5, 15, v1
	v_add_nc_u32_e32 v2, 63, v2
	v_or_b32_e32 v3, 32, v3
	s_delay_alu instid0(VALU_DEP_3) | instskip(NEXT) | instid1(VALU_DEP_3)
	v_cmp_ne_u32_e32 vcc_lo, 15, v5
	v_lshrrev_b32_e32 v2, 6, v2
	s_wait_alu 0xfffd
	v_add_co_ci_u32_e64 v6, null, 0, v1, vcc_lo
	s_delay_alu instid0(VALU_DEP_1)
	v_lshlrev_b32_e32 v6, 2, v6
	s_wait_dscnt 0x0
	ds_bpermute_b32 v6, v6, v4
	s_wait_dscnt 0x0
	v_add_f32_e32 v6, v4, v6
	v_cmp_gt_u32_e32 vcc_lo, 14, v5
	v_add_nc_u32_e32 v8, 1, v5
	v_cmp_gt_u32_e64 s3, 12, v5
	v_add_nc_u32_e32 v9, 2, v5
	s_wait_alu 0xfffd
	v_cndmask_b32_e64 v7, 0, 2, vcc_lo
	v_cmp_lt_u32_e32 vcc_lo, v8, v2
	v_cndmask_b32_e64 v8, 0, 4, s3
	v_cmp_lt_u32_e64 s3, v9, v2
	s_delay_alu instid0(VALU_DEP_4)
	v_add_lshl_u32 v7, v7, v1, 2
	s_wait_alu 0xfffd
	v_cndmask_b32_e32 v6, v4, v6, vcc_lo
	v_add_lshl_u32 v1, v8, v1, 2
	ds_bpermute_b32 v7, v7, v6
	s_wait_dscnt 0x0
	v_add_f32_e32 v7, v6, v7
	s_wait_alu 0xf1ff
	s_delay_alu instid0(VALU_DEP_1)
	v_cndmask_b32_e64 v6, v6, v7, s3
	v_add_nc_u32_e32 v7, 4, v5
	v_add_nc_u32_e32 v5, 8, v5
	ds_bpermute_b32 v1, v1, v6
	v_cmp_lt_u32_e64 s3, v7, v2
	s_wait_dscnt 0x0
	v_add_f32_e32 v1, v6, v1
	s_wait_alu 0xf1ff
	s_delay_alu instid0(VALU_DEP_1)
	v_cndmask_b32_e64 v1, v6, v1, s3
	v_cmp_lt_u32_e64 s3, v5, v2
	ds_bpermute_b32 v3, v3, v1
	s_wait_dscnt 0x0
	v_add_f32_e32 v3, v1, v3
	s_wait_alu 0xf1ff
	s_delay_alu instid0(VALU_DEP_1) | instskip(NEXT) | instid1(VALU_DEP_1)
	v_cndmask_b32_e64 v1, v1, v3, s3
	v_cndmask_b32_e32 v4, v4, v1, vcc_lo
.LBB5_10:
	s_wait_alu 0xfffe
	s_or_b32 exec_lo, exec_lo, s4
	s_delay_alu instid0(SALU_CYCLE_1)
	s_mov_b32 s3, exec_lo
	v_cmpx_eq_u32_e32 0, v0
	s_cbranch_execz .LBB5_12
; %bb.11:
	s_cvt_f32_i32 s4, s7
	s_load_b32 s0, s[0:1], 0x28
	s_delay_alu instid0(SALU_CYCLE_2) | instskip(SKIP_1) | instid1(VALU_DEP_2)
	v_div_scale_f32 v0, null, s4, s4, v4
	v_div_scale_f32 v3, vcc_lo, v4, s4, v4
	v_rcp_f32_e32 v1, v0
	s_delay_alu instid0(TRANS32_DEP_1) | instskip(NEXT) | instid1(VALU_DEP_1)
	v_fma_f32 v2, -v0, v1, 1.0
	v_fmac_f32_e32 v1, v2, v1
	s_delay_alu instid0(VALU_DEP_1) | instskip(NEXT) | instid1(VALU_DEP_1)
	v_mul_f32_e32 v2, v3, v1
	v_fma_f32 v5, -v0, v2, v3
	s_delay_alu instid0(VALU_DEP_1) | instskip(NEXT) | instid1(VALU_DEP_1)
	v_fmac_f32_e32 v2, v5, v1
	v_fma_f32 v0, -v0, v2, v3
	s_wait_alu 0xfffd
	s_delay_alu instid0(VALU_DEP_1) | instskip(NEXT) | instid1(VALU_DEP_1)
	v_div_fmas_f32 v0, v0, v1, v2
	v_div_fixup_f32 v0, v0, s4, v4
	s_wait_kmcnt 0x0
	s_delay_alu instid0(VALU_DEP_1) | instskip(NEXT) | instid1(VALU_DEP_1)
	v_add_f32_e32 v0, s0, v0
	v_mul_f32_e32 v1, 0x4b800000, v0
	v_cmp_gt_f32_e32 vcc_lo, 0x800000, v0
	s_wait_alu 0xfffd
	s_delay_alu instid0(VALU_DEP_2) | instskip(NEXT) | instid1(VALU_DEP_1)
	v_cndmask_b32_e32 v0, v0, v1, vcc_lo
	v_rsq_f32_e32 v0, v0
	s_delay_alu instid0(TRANS32_DEP_1) | instskip(NEXT) | instid1(VALU_DEP_1)
	v_mul_f32_e32 v1, 0x45800000, v0
	v_dual_cndmask_b32 v0, v0, v1 :: v_dual_mov_b32 v1, 0
	ds_store_b32 v1, v0 offset:64
.LBB5_12:
	s_wait_alu 0xfffe
	s_or_b32 exec_lo, exec_lo, s3
	s_wait_loadcnt_dscnt 0x0
	s_barrier_signal -1
	s_barrier_wait -1
	global_inv scope:SCOPE_SE
	s_and_saveexec_b32 s0, s2
	s_cbranch_execnz .LBB5_14
; %bb.13:
	s_endpgm
.LBB5_14:
	s_trap 2
	; divergent unreachable
	s_endpgm
	.section	.rodata,"a",@progbits
	.p2align	6, 0x0
	.amdhsa_kernel _ZN4vllm32rms_norm_static_fp8_quant_kernelIN3c108BFloat16ENS1_15Float8_e4m3fnuzEEEvPT0_PKT_iS8_PKffii
		.amdhsa_group_segment_fixed_size 68
		.amdhsa_private_segment_fixed_size 0
		.amdhsa_kernarg_size 312
		.amdhsa_user_sgpr_count 2
		.amdhsa_user_sgpr_dispatch_ptr 0
		.amdhsa_user_sgpr_queue_ptr 0
		.amdhsa_user_sgpr_kernarg_segment_ptr 1
		.amdhsa_user_sgpr_dispatch_id 0
		.amdhsa_user_sgpr_private_segment_size 0
		.amdhsa_wavefront_size32 1
		.amdhsa_uses_dynamic_stack 0
		.amdhsa_enable_private_segment 0
		.amdhsa_system_sgpr_workgroup_id_x 1
		.amdhsa_system_sgpr_workgroup_id_y 0
		.amdhsa_system_sgpr_workgroup_id_z 0
		.amdhsa_system_sgpr_workgroup_info 0
		.amdhsa_system_vgpr_workitem_id 0
		.amdhsa_next_free_vgpr 10
		.amdhsa_next_free_sgpr 10
		.amdhsa_reserve_vcc 1
		.amdhsa_float_round_mode_32 0
		.amdhsa_float_round_mode_16_64 0
		.amdhsa_float_denorm_mode_32 3
		.amdhsa_float_denorm_mode_16_64 3
		.amdhsa_fp16_overflow 0
		.amdhsa_workgroup_processor_mode 1
		.amdhsa_memory_ordered 1
		.amdhsa_forward_progress 1
		.amdhsa_inst_pref_size 10
		.amdhsa_round_robin_scheduling 0
		.amdhsa_exception_fp_ieee_invalid_op 0
		.amdhsa_exception_fp_denorm_src 0
		.amdhsa_exception_fp_ieee_div_zero 0
		.amdhsa_exception_fp_ieee_overflow 0
		.amdhsa_exception_fp_ieee_underflow 0
		.amdhsa_exception_fp_ieee_inexact 0
		.amdhsa_exception_int_div_zero 0
	.end_amdhsa_kernel
	.section	.text._ZN4vllm32rms_norm_static_fp8_quant_kernelIN3c108BFloat16ENS1_15Float8_e4m3fnuzEEEvPT0_PKT_iS8_PKffii,"axG",@progbits,_ZN4vllm32rms_norm_static_fp8_quant_kernelIN3c108BFloat16ENS1_15Float8_e4m3fnuzEEEvPT0_PKT_iS8_PKffii,comdat
.Lfunc_end5:
	.size	_ZN4vllm32rms_norm_static_fp8_quant_kernelIN3c108BFloat16ENS1_15Float8_e4m3fnuzEEEvPT0_PKT_iS8_PKffii, .Lfunc_end5-_ZN4vllm32rms_norm_static_fp8_quant_kernelIN3c108BFloat16ENS1_15Float8_e4m3fnuzEEEvPT0_PKT_iS8_PKffii
                                        ; -- End function
	.set _ZN4vllm32rms_norm_static_fp8_quant_kernelIN3c108BFloat16ENS1_15Float8_e4m3fnuzEEEvPT0_PKT_iS8_PKffii.num_vgpr, 10
	.set _ZN4vllm32rms_norm_static_fp8_quant_kernelIN3c108BFloat16ENS1_15Float8_e4m3fnuzEEEvPT0_PKT_iS8_PKffii.num_agpr, 0
	.set _ZN4vllm32rms_norm_static_fp8_quant_kernelIN3c108BFloat16ENS1_15Float8_e4m3fnuzEEEvPT0_PKT_iS8_PKffii.numbered_sgpr, 10
	.set _ZN4vllm32rms_norm_static_fp8_quant_kernelIN3c108BFloat16ENS1_15Float8_e4m3fnuzEEEvPT0_PKT_iS8_PKffii.num_named_barrier, 0
	.set _ZN4vllm32rms_norm_static_fp8_quant_kernelIN3c108BFloat16ENS1_15Float8_e4m3fnuzEEEvPT0_PKT_iS8_PKffii.private_seg_size, 0
	.set _ZN4vllm32rms_norm_static_fp8_quant_kernelIN3c108BFloat16ENS1_15Float8_e4m3fnuzEEEvPT0_PKT_iS8_PKffii.uses_vcc, 1
	.set _ZN4vllm32rms_norm_static_fp8_quant_kernelIN3c108BFloat16ENS1_15Float8_e4m3fnuzEEEvPT0_PKT_iS8_PKffii.uses_flat_scratch, 0
	.set _ZN4vllm32rms_norm_static_fp8_quant_kernelIN3c108BFloat16ENS1_15Float8_e4m3fnuzEEEvPT0_PKT_iS8_PKffii.has_dyn_sized_stack, 0
	.set _ZN4vllm32rms_norm_static_fp8_quant_kernelIN3c108BFloat16ENS1_15Float8_e4m3fnuzEEEvPT0_PKT_iS8_PKffii.has_recursion, 0
	.set _ZN4vllm32rms_norm_static_fp8_quant_kernelIN3c108BFloat16ENS1_15Float8_e4m3fnuzEEEvPT0_PKT_iS8_PKffii.has_indirect_call, 0
	.section	.AMDGPU.csdata,"",@progbits
; Kernel info:
; codeLenInByte = 1208
; TotalNumSgprs: 12
; NumVgprs: 10
; ScratchSize: 0
; MemoryBound: 0
; FloatMode: 240
; IeeeMode: 1
; LDSByteSize: 68 bytes/workgroup (compile time only)
; SGPRBlocks: 0
; VGPRBlocks: 1
; NumSGPRsForWavesPerEU: 12
; NumVGPRsForWavesPerEU: 10
; Occupancy: 16
; WaveLimiterHint : 0
; COMPUTE_PGM_RSRC2:SCRATCH_EN: 0
; COMPUTE_PGM_RSRC2:USER_SGPR: 2
; COMPUTE_PGM_RSRC2:TRAP_HANDLER: 0
; COMPUTE_PGM_RSRC2:TGID_X_EN: 1
; COMPUTE_PGM_RSRC2:TGID_Y_EN: 0
; COMPUTE_PGM_RSRC2:TGID_Z_EN: 0
; COMPUTE_PGM_RSRC2:TIDIG_COMP_CNT: 0
	.section	.text._ZN4vllm42fused_add_rms_norm_static_fp8_quant_kernelIfLi8EN3c1013Float8_e4m3fnEEENSt9enable_ifIXooeqT0_Li0Entsr12_typeConvertIT_EE6existsEvE4typeEPT1_PS4_iS9_PKS4_PKffii,"axG",@progbits,_ZN4vllm42fused_add_rms_norm_static_fp8_quant_kernelIfLi8EN3c1013Float8_e4m3fnEEENSt9enable_ifIXooeqT0_Li0Entsr12_typeConvertIT_EE6existsEvE4typeEPT1_PS4_iS9_PKS4_PKffii,comdat
	.protected	_ZN4vllm42fused_add_rms_norm_static_fp8_quant_kernelIfLi8EN3c1013Float8_e4m3fnEEENSt9enable_ifIXooeqT0_Li0Entsr12_typeConvertIT_EE6existsEvE4typeEPT1_PS4_iS9_PKS4_PKffii ; -- Begin function _ZN4vllm42fused_add_rms_norm_static_fp8_quant_kernelIfLi8EN3c1013Float8_e4m3fnEEENSt9enable_ifIXooeqT0_Li0Entsr12_typeConvertIT_EE6existsEvE4typeEPT1_PS4_iS9_PKS4_PKffii
	.globl	_ZN4vllm42fused_add_rms_norm_static_fp8_quant_kernelIfLi8EN3c1013Float8_e4m3fnEEENSt9enable_ifIXooeqT0_Li0Entsr12_typeConvertIT_EE6existsEvE4typeEPT1_PS4_iS9_PKS4_PKffii
	.p2align	8
	.type	_ZN4vllm42fused_add_rms_norm_static_fp8_quant_kernelIfLi8EN3c1013Float8_e4m3fnEEENSt9enable_ifIXooeqT0_Li0Entsr12_typeConvertIT_EE6existsEvE4typeEPT1_PS4_iS9_PKS4_PKffii,@function
_ZN4vllm42fused_add_rms_norm_static_fp8_quant_kernelIfLi8EN3c1013Float8_e4m3fnEEENSt9enable_ifIXooeqT0_Li0Entsr12_typeConvertIT_EE6existsEvE4typeEPT1_PS4_iS9_PKS4_PKffii: ; @_ZN4vllm42fused_add_rms_norm_static_fp8_quant_kernelIfLi8EN3c1013Float8_e4m3fnEEENSt9enable_ifIXooeqT0_Li0Entsr12_typeConvertIT_EE6existsEvE4typeEPT1_PS4_iS9_PKS4_PKffii
; %bb.0:
	s_clause 0x1
	s_load_b32 s11, s[0:1], 0x38
	s_load_b64 s[12:13], s[0:1], 0x18
	s_mov_b32 s3, exec_lo
                                        ; implicit-def: $sgpr8
                                        ; implicit-def: $sgpr9
	s_wait_kmcnt 0x0
	v_cmp_gt_i32_e64 s2, s11, v0
	v_cmpx_le_i32_e64 s11, v0
	s_xor_b32 s3, exec_lo, s3
	s_cbranch_execz .LBB6_2
; %bb.1:
	s_load_b32 s4, s[0:1], 0x4c
	s_mov_b32 s8, ttmp9
	s_wait_kmcnt 0x0
	s_and_b32 s9, s4, 0xffff
.LBB6_2:
	s_or_saveexec_b32 s3, s3
	s_clause 0x1
	s_load_b64 s[14:15], s[0:1], 0x0
	s_load_b128 s[4:7], s[0:1], 0x20
	v_dual_mov_b32 v3, 0 :: v_dual_mov_b32 v4, s9
	v_mov_b32_e32 v1, s8
	s_xor_b32 exec_lo, exec_lo, s3
	s_cbranch_execz .LBB6_6
; %bb.3:
	s_clause 0x1
	s_load_b96 s[8:10], s[0:1], 0x8
	s_load_b32 s18, s[0:1], 0x4c
	v_dual_mov_b32 v2, 0 :: v_dual_mov_b32 v3, 0
	v_mov_b32_e32 v4, v0
	s_mul_i32 s16, s11, ttmp9
	s_wait_kmcnt 0x0
	s_mul_i32 s17, s10, ttmp9
	s_and_b32 s10, s18, 0xffff
	s_mov_b32 s18, 0
.LBB6_4:                                ; =>This Inner Loop Header: Depth=1
	v_add_nc_u32_e32 v1, s17, v4
	s_delay_alu instid0(VALU_DEP_1) | instskip(SKIP_1) | instid1(VALU_DEP_1)
	v_lshlrev_b64_e32 v[5:6], 2, v[1:2]
	v_add_nc_u32_e32 v1, s16, v4
	v_lshlrev_b64_e32 v[7:8], 2, v[1:2]
	s_delay_alu instid0(VALU_DEP_3) | instskip(SKIP_1) | instid1(VALU_DEP_4)
	v_add_co_u32 v5, vcc_lo, s8, v5
	s_wait_alu 0xfffd
	v_add_co_ci_u32_e64 v6, null, s9, v6, vcc_lo
	s_delay_alu instid0(VALU_DEP_3)
	v_add_co_u32 v7, vcc_lo, s12, v7
	s_wait_alu 0xfffd
	v_add_co_ci_u32_e64 v8, null, s13, v8, vcc_lo
	global_load_b32 v1, v[5:6], off
	global_load_b32 v5, v[7:8], off
	s_wait_loadcnt 0x0
	s_wait_alu 0xfffe
	v_dual_add_f32 v1, v1, v5 :: v_dual_add_nc_u32 v4, s10, v4
	s_delay_alu instid0(VALU_DEP_1) | instskip(NEXT) | instid1(VALU_DEP_2)
	v_cmp_le_i32_e32 vcc_lo, s11, v4
	v_fmac_f32_e32 v3, v1, v1
	s_or_b32 s18, vcc_lo, s18
	global_store_b32 v[7:8], v1, off
	s_and_not1_b32 exec_lo, exec_lo, s18
	s_cbranch_execnz .LBB6_4
; %bb.5:
	s_or_b32 exec_lo, exec_lo, s18
	v_dual_mov_b32 v1, ttmp9 :: v_dual_mov_b32 v4, s10
.LBB6_6:
	s_or_b32 exec_lo, exec_lo, s3
	v_mbcnt_lo_u32_b32 v2, -1, 0
	s_mov_b32 s3, exec_lo
	s_delay_alu instid0(VALU_DEP_1) | instskip(SKIP_3) | instid1(VALU_DEP_2)
	v_cmp_ne_u32_e32 vcc_lo, 63, v2
	s_wait_alu 0xfffd
	v_add_co_ci_u32_e64 v5, null, 0, v2, vcc_lo
	v_cmp_gt_u32_e32 vcc_lo, 62, v2
	v_lshlrev_b32_e32 v5, 2, v5
	s_wait_alu 0xfffd
	v_cndmask_b32_e64 v7, 0, 2, vcc_lo
	ds_bpermute_b32 v5, v5, v3
	v_and_b32_e32 v6, 0x3c0, v0
	v_add_lshl_u32 v7, v7, v2, 2
	s_wait_dscnt 0x0
	v_add_f32_e32 v5, v3, v5
	s_delay_alu instid0(VALU_DEP_3) | instskip(SKIP_1) | instid1(VALU_DEP_1)
	v_sub_nc_u32_e64 v6, v4, v6 clamp
	v_add_nc_u32_e32 v8, 1, v2
	v_cmp_lt_u32_e32 vcc_lo, v8, v6
	s_wait_alu 0xfffd
	v_cndmask_b32_e32 v3, v3, v5, vcc_lo
	v_cmp_gt_u32_e32 vcc_lo, 60, v2
	ds_bpermute_b32 v5, v7, v3
	v_add_nc_u32_e32 v8, 2, v2
	s_wait_alu 0xfffd
	v_cndmask_b32_e64 v7, 0, 4, vcc_lo
	s_delay_alu instid0(VALU_DEP_1) | instskip(SKIP_4) | instid1(VALU_DEP_2)
	v_add_lshl_u32 v7, v7, v2, 2
	s_wait_dscnt 0x0
	v_add_f32_e32 v5, v3, v5
	v_cmp_lt_u32_e32 vcc_lo, v8, v6
	s_wait_alu 0xfffd
	v_dual_cndmask_b32 v3, v3, v5 :: v_dual_add_nc_u32 v8, 4, v2
	v_cmp_gt_u32_e32 vcc_lo, 56, v2
	ds_bpermute_b32 v5, v7, v3
	s_wait_alu 0xfffd
	v_cndmask_b32_e64 v7, 0, 8, vcc_lo
	v_cmp_lt_u32_e32 vcc_lo, v8, v6
	v_add_nc_u32_e32 v8, 8, v2
	s_delay_alu instid0(VALU_DEP_3) | instskip(SKIP_3) | instid1(VALU_DEP_1)
	v_add_lshl_u32 v7, v7, v2, 2
	s_wait_dscnt 0x0
	v_add_f32_e32 v5, v3, v5
	s_wait_alu 0xfffd
	v_cndmask_b32_e32 v3, v3, v5, vcc_lo
	v_cmp_gt_u32_e32 vcc_lo, 48, v2
	ds_bpermute_b32 v5, v7, v3
	s_wait_alu 0xfffd
	v_cndmask_b32_e64 v7, 0, 16, vcc_lo
	v_cmp_lt_u32_e32 vcc_lo, v8, v6
	s_delay_alu instid0(VALU_DEP_2) | instskip(SKIP_3) | instid1(VALU_DEP_1)
	v_add_lshl_u32 v7, v7, v2, 2
	s_wait_dscnt 0x0
	v_add_f32_e32 v5, v3, v5
	s_wait_alu 0xfffd
	v_cndmask_b32_e32 v5, v3, v5, vcc_lo
	ds_bpermute_b32 v3, v7, v5
	s_wait_dscnt 0x0
	v_dual_add_f32 v8, v5, v3 :: v_dual_add_nc_u32 v7, 16, v2
	s_delay_alu instid0(VALU_DEP_1) | instskip(SKIP_2) | instid1(VALU_DEP_3)
	v_cmp_lt_u32_e32 vcc_lo, v7, v6
	v_lshlrev_b32_e32 v3, 2, v2
	s_wait_alu 0xfffd
	v_cndmask_b32_e32 v5, v5, v8, vcc_lo
	v_or_b32_e32 v8, 32, v2
	ds_bpermute_b32 v7, v3, v5 offset:128
	v_cmp_lt_u32_e32 vcc_lo, v8, v6
	s_wait_dscnt 0x0
	v_add_f32_e32 v7, v5, v7
	s_wait_alu 0xfffd
	s_delay_alu instid0(VALU_DEP_1)
	v_cndmask_b32_e32 v5, v5, v7, vcc_lo
	v_cmpx_eq_u32_e32 0, v2
; %bb.7:
	v_lshrrev_b32_e32 v6, 4, v0
	s_delay_alu instid0(VALU_DEP_1)
	v_and_b32_e32 v6, 60, v6
	ds_store_b32 v6, v5
; %bb.8:
	s_or_b32 exec_lo, exec_lo, s3
	s_delay_alu instid0(SALU_CYCLE_1)
	s_mov_b32 s8, exec_lo
	s_wait_storecnt_dscnt 0x0
	s_barrier_signal -1
	s_barrier_wait -1
	global_inv scope:SCOPE_SE
	v_cmpx_gt_u32_e32 16, v0
	s_cbranch_execz .LBB6_10
; %bb.9:
	ds_load_b32 v5, v3
	v_and_b32_e32 v6, 15, v2
	v_or_b32_e32 v3, 32, v3
	s_delay_alu instid0(VALU_DEP_2) | instskip(SKIP_2) | instid1(VALU_DEP_1)
	v_cmp_ne_u32_e32 vcc_lo, 15, v6
	s_wait_alu 0xfffd
	v_add_co_ci_u32_e64 v7, null, 0, v2, vcc_lo
	v_lshlrev_b32_e32 v7, 2, v7
	s_wait_dscnt 0x0
	ds_bpermute_b32 v7, v7, v5
	s_wait_dscnt 0x0
	v_dual_add_f32 v7, v5, v7 :: v_dual_add_nc_u32 v8, 63, v4
	v_cmp_gt_u32_e32 vcc_lo, 14, v6
	v_add_nc_u32_e32 v10, 1, v6
	v_cmp_gt_u32_e64 s3, 12, v6
	v_add_nc_u32_e32 v11, 2, v6
	v_lshrrev_b32_e32 v8, 6, v8
	s_wait_alu 0xfffd
	v_cndmask_b32_e64 v9, 0, 2, vcc_lo
	s_delay_alu instid0(VALU_DEP_2) | instskip(NEXT) | instid1(VALU_DEP_2)
	v_cmp_lt_u32_e32 vcc_lo, v10, v8
	v_add_lshl_u32 v9, v9, v2, 2
	v_cndmask_b32_e64 v10, 0, 4, s3
	v_cmp_lt_u32_e64 s3, v11, v8
	s_wait_alu 0xfffd
	v_cndmask_b32_e32 v7, v5, v7, vcc_lo
	s_delay_alu instid0(VALU_DEP_3) | instskip(SKIP_4) | instid1(VALU_DEP_1)
	v_add_lshl_u32 v2, v10, v2, 2
	ds_bpermute_b32 v9, v9, v7
	s_wait_dscnt 0x0
	v_add_f32_e32 v9, v7, v9
	s_wait_alu 0xf1ff
	v_cndmask_b32_e64 v7, v7, v9, s3
	v_add_nc_u32_e32 v9, 4, v6
	ds_bpermute_b32 v2, v2, v7
	v_cmp_lt_u32_e64 s3, v9, v8
	s_wait_dscnt 0x0
	v_add_f32_e32 v2, v7, v2
	s_wait_alu 0xf1ff
	s_delay_alu instid0(VALU_DEP_1) | instskip(SKIP_3) | instid1(VALU_DEP_1)
	v_cndmask_b32_e64 v2, v7, v2, s3
	ds_bpermute_b32 v3, v3, v2
	s_wait_dscnt 0x0
	v_dual_add_f32 v3, v2, v3 :: v_dual_add_nc_u32 v6, 8, v6
	v_cmp_lt_u32_e64 s3, v6, v8
	s_wait_alu 0xf1ff
	s_delay_alu instid0(VALU_DEP_1) | instskip(NEXT) | instid1(VALU_DEP_1)
	v_cndmask_b32_e64 v2, v2, v3, s3
	v_cndmask_b32_e32 v5, v5, v2, vcc_lo
.LBB6_10:
	s_wait_alu 0xfffe
	s_or_b32 exec_lo, exec_lo, s8
	s_delay_alu instid0(SALU_CYCLE_1)
	s_mov_b32 s3, exec_lo
	v_cmpx_eq_u32_e32 0, v0
	s_cbranch_execz .LBB6_12
; %bb.11:
	s_cvt_f32_i32 s8, s11
	s_load_b32 s0, s[0:1], 0x30
	s_delay_alu instid0(SALU_CYCLE_2) | instskip(SKIP_1) | instid1(VALU_DEP_2)
	v_div_scale_f32 v2, null, s8, s8, v5
	v_div_scale_f32 v7, vcc_lo, v5, s8, v5
	v_rcp_f32_e32 v3, v2
	s_delay_alu instid0(TRANS32_DEP_1) | instskip(NEXT) | instid1(VALU_DEP_1)
	v_fma_f32 v6, -v2, v3, 1.0
	v_fmac_f32_e32 v3, v6, v3
	s_delay_alu instid0(VALU_DEP_1) | instskip(NEXT) | instid1(VALU_DEP_1)
	v_mul_f32_e32 v6, v7, v3
	v_fma_f32 v8, -v2, v6, v7
	s_delay_alu instid0(VALU_DEP_1) | instskip(NEXT) | instid1(VALU_DEP_1)
	v_fmac_f32_e32 v6, v8, v3
	v_fma_f32 v2, -v2, v6, v7
	s_wait_alu 0xfffd
	s_delay_alu instid0(VALU_DEP_1) | instskip(NEXT) | instid1(VALU_DEP_1)
	v_div_fmas_f32 v2, v2, v3, v6
	v_div_fixup_f32 v2, v2, s8, v5
	s_wait_kmcnt 0x0
	s_delay_alu instid0(VALU_DEP_1) | instskip(NEXT) | instid1(VALU_DEP_1)
	v_add_f32_e32 v2, s0, v2
	v_mul_f32_e32 v3, 0x4b800000, v2
	v_cmp_gt_f32_e32 vcc_lo, 0x800000, v2
	s_wait_alu 0xfffd
	s_delay_alu instid0(VALU_DEP_2) | instskip(NEXT) | instid1(VALU_DEP_1)
	v_cndmask_b32_e32 v2, v2, v3, vcc_lo
	v_rsq_f32_e32 v2, v2
	s_delay_alu instid0(TRANS32_DEP_1) | instskip(NEXT) | instid1(VALU_DEP_1)
	v_mul_f32_e32 v3, 0x45800000, v2
	v_dual_cndmask_b32 v2, v2, v3 :: v_dual_mov_b32 v3, 0
	ds_store_b32 v3, v2 offset:64
.LBB6_12:
	s_wait_alu 0xfffe
	s_or_b32 exec_lo, exec_lo, s3
	s_wait_loadcnt_dscnt 0x0
	s_barrier_signal -1
	s_barrier_wait -1
	global_inv scope:SCOPE_SE
	s_and_saveexec_b32 s0, s2
	s_cbranch_execz .LBB6_15
; %bb.13:
	s_wait_kmcnt 0x0
	s_load_b32 s0, s[6:7], 0x0
	s_mov_b32 s1, 0x43e00000
	s_wait_kmcnt 0x0
	v_div_scale_f32 v2, null, s0, s0, 1.0
	v_div_scale_f32 v7, vcc_lo, 1.0, s0, 1.0
	s_delay_alu instid0(VALU_DEP_2)
	v_rcp_f32_e32 v6, v2
	v_xor_b32_e32 v2, 0x80000000, v2
	s_delay_alu instid0(TRANS32_DEP_1) | instid1(VALU_DEP_1)
	v_fma_f32 v3, v2, v6, 1.0
	s_delay_alu instid0(VALU_DEP_1) | instskip(NEXT) | instid1(VALU_DEP_1)
	v_dual_fmac_f32 v6, v3, v6 :: v_dual_mov_b32 v3, 0
	v_mul_f32_e32 v8, v7, v6
	s_delay_alu instid0(VALU_DEP_1) | instskip(NEXT) | instid1(VALU_DEP_1)
	v_fma_f32 v5, v2, v8, v7
	v_fmac_f32_e32 v8, v5, v6
	ds_load_b32 v5, v3 offset:64
	v_fmac_f32_e32 v7, v2, v8
	s_wait_alu 0xfffd
	s_delay_alu instid0(VALU_DEP_1) | instskip(SKIP_1) | instid1(VALU_DEP_2)
	v_div_fmas_f32 v2, v7, v6, v8
	v_mul_lo_u32 v6, s11, v1
	v_div_fixup_f32 v7, v2, s0, 1.0
	s_mov_b32 s0, 0
.LBB6_14:                               ; =>This Inner Loop Header: Depth=1
	s_delay_alu instid0(VALU_DEP_2) | instskip(SKIP_1) | instid1(VALU_DEP_2)
	v_add_nc_u32_e32 v2, v6, v0
	v_ashrrev_i32_e32 v1, 31, v0
	v_lshlrev_b64_e32 v[8:9], 2, v[2:3]
	s_delay_alu instid0(VALU_DEP_2) | instskip(SKIP_1) | instid1(VALU_DEP_3)
	v_lshlrev_b64_e32 v[10:11], 2, v[0:1]
	v_add_nc_u32_e32 v0, v0, v4
	v_add_co_u32 v8, vcc_lo, s12, v8
	s_wait_alu 0xfffd
	s_delay_alu instid0(VALU_DEP_4) | instskip(NEXT) | instid1(VALU_DEP_4)
	v_add_co_ci_u32_e64 v9, null, s13, v9, vcc_lo
	v_add_co_u32 v10, vcc_lo, s4, v10
	s_wait_alu 0xfffd
	v_add_co_ci_u32_e64 v11, null, s5, v11, vcc_lo
	global_load_b32 v1, v[8:9], off
	global_load_b32 v8, v[10:11], off
	v_mov_b32_e32 v9, v3
	s_wait_loadcnt_dscnt 0x100
	v_mul_f32_e32 v1, v1, v5
	s_wait_loadcnt 0x0
	s_delay_alu instid0(VALU_DEP_1) | instskip(NEXT) | instid1(VALU_DEP_1)
	v_mul_f32_e32 v1, v1, v8
	v_mul_f32_e32 v1, v7, v1
	s_wait_alu 0xfffe
	s_delay_alu instid0(VALU_DEP_1) | instskip(NEXT) | instid1(VALU_DEP_1)
	v_minmax_num_f32 v1, v1, s1, 0xc3e00000
	v_med3_num_f32 v8, v1, s1, 0xc3e00000
	v_cmp_nlg_f32_e64 vcc_lo, 0x7f800000, |v1|
	s_wait_alu 0xfffd
	s_delay_alu instid0(VALU_DEP_2) | instskip(SKIP_1) | instid1(VALU_DEP_2)
	v_cndmask_b32_e32 v1, v8, v1, vcc_lo
	v_cmp_le_i32_e32 vcc_lo, s11, v0
	v_cvt_pk_fp8_f32 v9, v1, v1
	s_or_b32 s0, vcc_lo, s0
	global_store_b8 v2, v9, s[14:15]
	s_wait_alu 0xfffe
	s_and_not1_b32 exec_lo, exec_lo, s0
	s_cbranch_execnz .LBB6_14
.LBB6_15:
	s_endpgm
	.section	.rodata,"a",@progbits
	.p2align	6, 0x0
	.amdhsa_kernel _ZN4vllm42fused_add_rms_norm_static_fp8_quant_kernelIfLi8EN3c1013Float8_e4m3fnEEENSt9enable_ifIXooeqT0_Li0Entsr12_typeConvertIT_EE6existsEvE4typeEPT1_PS4_iS9_PKS4_PKffii
		.amdhsa_group_segment_fixed_size 68
		.amdhsa_private_segment_fixed_size 0
		.amdhsa_kernarg_size 320
		.amdhsa_user_sgpr_count 2
		.amdhsa_user_sgpr_dispatch_ptr 0
		.amdhsa_user_sgpr_queue_ptr 0
		.amdhsa_user_sgpr_kernarg_segment_ptr 1
		.amdhsa_user_sgpr_dispatch_id 0
		.amdhsa_user_sgpr_private_segment_size 0
		.amdhsa_wavefront_size32 1
		.amdhsa_uses_dynamic_stack 0
		.amdhsa_enable_private_segment 0
		.amdhsa_system_sgpr_workgroup_id_x 1
		.amdhsa_system_sgpr_workgroup_id_y 0
		.amdhsa_system_sgpr_workgroup_id_z 0
		.amdhsa_system_sgpr_workgroup_info 0
		.amdhsa_system_vgpr_workitem_id 0
		.amdhsa_next_free_vgpr 12
		.amdhsa_next_free_sgpr 19
		.amdhsa_reserve_vcc 1
		.amdhsa_float_round_mode_32 0
		.amdhsa_float_round_mode_16_64 0
		.amdhsa_float_denorm_mode_32 3
		.amdhsa_float_denorm_mode_16_64 3
		.amdhsa_fp16_overflow 0
		.amdhsa_workgroup_processor_mode 1
		.amdhsa_memory_ordered 1
		.amdhsa_forward_progress 1
		.amdhsa_inst_pref_size 13
		.amdhsa_round_robin_scheduling 0
		.amdhsa_exception_fp_ieee_invalid_op 0
		.amdhsa_exception_fp_denorm_src 0
		.amdhsa_exception_fp_ieee_div_zero 0
		.amdhsa_exception_fp_ieee_overflow 0
		.amdhsa_exception_fp_ieee_underflow 0
		.amdhsa_exception_fp_ieee_inexact 0
		.amdhsa_exception_int_div_zero 0
	.end_amdhsa_kernel
	.section	.text._ZN4vllm42fused_add_rms_norm_static_fp8_quant_kernelIfLi8EN3c1013Float8_e4m3fnEEENSt9enable_ifIXooeqT0_Li0Entsr12_typeConvertIT_EE6existsEvE4typeEPT1_PS4_iS9_PKS4_PKffii,"axG",@progbits,_ZN4vllm42fused_add_rms_norm_static_fp8_quant_kernelIfLi8EN3c1013Float8_e4m3fnEEENSt9enable_ifIXooeqT0_Li0Entsr12_typeConvertIT_EE6existsEvE4typeEPT1_PS4_iS9_PKS4_PKffii,comdat
.Lfunc_end6:
	.size	_ZN4vllm42fused_add_rms_norm_static_fp8_quant_kernelIfLi8EN3c1013Float8_e4m3fnEEENSt9enable_ifIXooeqT0_Li0Entsr12_typeConvertIT_EE6existsEvE4typeEPT1_PS4_iS9_PKS4_PKffii, .Lfunc_end6-_ZN4vllm42fused_add_rms_norm_static_fp8_quant_kernelIfLi8EN3c1013Float8_e4m3fnEEENSt9enable_ifIXooeqT0_Li0Entsr12_typeConvertIT_EE6existsEvE4typeEPT1_PS4_iS9_PKS4_PKffii
                                        ; -- End function
	.set _ZN4vllm42fused_add_rms_norm_static_fp8_quant_kernelIfLi8EN3c1013Float8_e4m3fnEEENSt9enable_ifIXooeqT0_Li0Entsr12_typeConvertIT_EE6existsEvE4typeEPT1_PS4_iS9_PKS4_PKffii.num_vgpr, 12
	.set _ZN4vllm42fused_add_rms_norm_static_fp8_quant_kernelIfLi8EN3c1013Float8_e4m3fnEEENSt9enable_ifIXooeqT0_Li0Entsr12_typeConvertIT_EE6existsEvE4typeEPT1_PS4_iS9_PKS4_PKffii.num_agpr, 0
	.set _ZN4vllm42fused_add_rms_norm_static_fp8_quant_kernelIfLi8EN3c1013Float8_e4m3fnEEENSt9enable_ifIXooeqT0_Li0Entsr12_typeConvertIT_EE6existsEvE4typeEPT1_PS4_iS9_PKS4_PKffii.numbered_sgpr, 19
	.set _ZN4vllm42fused_add_rms_norm_static_fp8_quant_kernelIfLi8EN3c1013Float8_e4m3fnEEENSt9enable_ifIXooeqT0_Li0Entsr12_typeConvertIT_EE6existsEvE4typeEPT1_PS4_iS9_PKS4_PKffii.num_named_barrier, 0
	.set _ZN4vllm42fused_add_rms_norm_static_fp8_quant_kernelIfLi8EN3c1013Float8_e4m3fnEEENSt9enable_ifIXooeqT0_Li0Entsr12_typeConvertIT_EE6existsEvE4typeEPT1_PS4_iS9_PKS4_PKffii.private_seg_size, 0
	.set _ZN4vllm42fused_add_rms_norm_static_fp8_quant_kernelIfLi8EN3c1013Float8_e4m3fnEEENSt9enable_ifIXooeqT0_Li0Entsr12_typeConvertIT_EE6existsEvE4typeEPT1_PS4_iS9_PKS4_PKffii.uses_vcc, 1
	.set _ZN4vllm42fused_add_rms_norm_static_fp8_quant_kernelIfLi8EN3c1013Float8_e4m3fnEEENSt9enable_ifIXooeqT0_Li0Entsr12_typeConvertIT_EE6existsEvE4typeEPT1_PS4_iS9_PKS4_PKffii.uses_flat_scratch, 0
	.set _ZN4vllm42fused_add_rms_norm_static_fp8_quant_kernelIfLi8EN3c1013Float8_e4m3fnEEENSt9enable_ifIXooeqT0_Li0Entsr12_typeConvertIT_EE6existsEvE4typeEPT1_PS4_iS9_PKS4_PKffii.has_dyn_sized_stack, 0
	.set _ZN4vllm42fused_add_rms_norm_static_fp8_quant_kernelIfLi8EN3c1013Float8_e4m3fnEEENSt9enable_ifIXooeqT0_Li0Entsr12_typeConvertIT_EE6existsEvE4typeEPT1_PS4_iS9_PKS4_PKffii.has_recursion, 0
	.set _ZN4vllm42fused_add_rms_norm_static_fp8_quant_kernelIfLi8EN3c1013Float8_e4m3fnEEENSt9enable_ifIXooeqT0_Li0Entsr12_typeConvertIT_EE6existsEvE4typeEPT1_PS4_iS9_PKS4_PKffii.has_indirect_call, 0
	.section	.AMDGPU.csdata,"",@progbits
; Kernel info:
; codeLenInByte = 1660
; TotalNumSgprs: 21
; NumVgprs: 12
; ScratchSize: 0
; MemoryBound: 0
; FloatMode: 240
; IeeeMode: 1
; LDSByteSize: 68 bytes/workgroup (compile time only)
; SGPRBlocks: 0
; VGPRBlocks: 1
; NumSGPRsForWavesPerEU: 21
; NumVGPRsForWavesPerEU: 12
; Occupancy: 16
; WaveLimiterHint : 0
; COMPUTE_PGM_RSRC2:SCRATCH_EN: 0
; COMPUTE_PGM_RSRC2:USER_SGPR: 2
; COMPUTE_PGM_RSRC2:TRAP_HANDLER: 0
; COMPUTE_PGM_RSRC2:TGID_X_EN: 1
; COMPUTE_PGM_RSRC2:TGID_Y_EN: 0
; COMPUTE_PGM_RSRC2:TGID_Z_EN: 0
; COMPUTE_PGM_RSRC2:TIDIG_COMP_CNT: 0
	.section	.text._ZN4vllm42fused_add_rms_norm_static_fp8_quant_kernelIfLi8EN3c1015Float8_e4m3fnuzEEENSt9enable_ifIXooeqT0_Li0Entsr12_typeConvertIT_EE6existsEvE4typeEPT1_PS4_iS9_PKS4_PKffii,"axG",@progbits,_ZN4vllm42fused_add_rms_norm_static_fp8_quant_kernelIfLi8EN3c1015Float8_e4m3fnuzEEENSt9enable_ifIXooeqT0_Li0Entsr12_typeConvertIT_EE6existsEvE4typeEPT1_PS4_iS9_PKS4_PKffii,comdat
	.protected	_ZN4vllm42fused_add_rms_norm_static_fp8_quant_kernelIfLi8EN3c1015Float8_e4m3fnuzEEENSt9enable_ifIXooeqT0_Li0Entsr12_typeConvertIT_EE6existsEvE4typeEPT1_PS4_iS9_PKS4_PKffii ; -- Begin function _ZN4vllm42fused_add_rms_norm_static_fp8_quant_kernelIfLi8EN3c1015Float8_e4m3fnuzEEENSt9enable_ifIXooeqT0_Li0Entsr12_typeConvertIT_EE6existsEvE4typeEPT1_PS4_iS9_PKS4_PKffii
	.globl	_ZN4vllm42fused_add_rms_norm_static_fp8_quant_kernelIfLi8EN3c1015Float8_e4m3fnuzEEENSt9enable_ifIXooeqT0_Li0Entsr12_typeConvertIT_EE6existsEvE4typeEPT1_PS4_iS9_PKS4_PKffii
	.p2align	8
	.type	_ZN4vllm42fused_add_rms_norm_static_fp8_quant_kernelIfLi8EN3c1015Float8_e4m3fnuzEEENSt9enable_ifIXooeqT0_Li0Entsr12_typeConvertIT_EE6existsEvE4typeEPT1_PS4_iS9_PKS4_PKffii,@function
_ZN4vllm42fused_add_rms_norm_static_fp8_quant_kernelIfLi8EN3c1015Float8_e4m3fnuzEEENSt9enable_ifIXooeqT0_Li0Entsr12_typeConvertIT_EE6existsEvE4typeEPT1_PS4_iS9_PKS4_PKffii: ; @_ZN4vllm42fused_add_rms_norm_static_fp8_quant_kernelIfLi8EN3c1015Float8_e4m3fnuzEEENSt9enable_ifIXooeqT0_Li0Entsr12_typeConvertIT_EE6existsEvE4typeEPT1_PS4_iS9_PKS4_PKffii
; %bb.0:
	s_load_b32 s7, s[0:1], 0x38
	s_mov_b32 s3, exec_lo
                                        ; implicit-def: $sgpr4
	s_wait_kmcnt 0x0
	v_cmp_gt_i32_e64 s2, s7, v0
	v_cmpx_le_i32_e64 s7, v0
	s_xor_b32 s3, exec_lo, s3
	s_cbranch_execz .LBB7_2
; %bb.1:
	s_load_b32 s4, s[0:1], 0x4c
	s_wait_kmcnt 0x0
	s_and_b32 s4, s4, 0xffff
.LBB7_2:
	s_or_saveexec_b32 s3, s3
	v_dual_mov_b32 v3, 0 :: v_dual_mov_b32 v2, s4
	s_xor_b32 exec_lo, exec_lo, s3
	s_cbranch_execz .LBB7_6
; %bb.3:
	s_clause 0x2
	s_load_b96 s[4:6], s[0:1], 0x8
	s_load_b32 s12, s[0:1], 0x4c
	s_load_b64 s[8:9], s[0:1], 0x18
	v_dual_mov_b32 v2, 0 :: v_dual_mov_b32 v3, 0
	v_mov_b32_e32 v4, v0
	s_mul_i32 s10, s7, ttmp9
	s_wait_kmcnt 0x0
	s_mul_i32 s11, s6, ttmp9
	s_and_b32 s6, s12, 0xffff
	s_mov_b32 s12, 0
.LBB7_4:                                ; =>This Inner Loop Header: Depth=1
	v_add_nc_u32_e32 v1, s11, v4
	s_delay_alu instid0(VALU_DEP_1) | instskip(SKIP_1) | instid1(VALU_DEP_1)
	v_lshlrev_b64_e32 v[5:6], 2, v[1:2]
	v_add_nc_u32_e32 v1, s10, v4
	v_lshlrev_b64_e32 v[7:8], 2, v[1:2]
	s_delay_alu instid0(VALU_DEP_3) | instskip(SKIP_1) | instid1(VALU_DEP_4)
	v_add_co_u32 v5, vcc_lo, s4, v5
	s_wait_alu 0xfffd
	v_add_co_ci_u32_e64 v6, null, s5, v6, vcc_lo
	s_delay_alu instid0(VALU_DEP_3)
	v_add_co_u32 v7, vcc_lo, s8, v7
	s_wait_alu 0xfffd
	v_add_co_ci_u32_e64 v8, null, s9, v8, vcc_lo
	global_load_b32 v1, v[5:6], off
	global_load_b32 v5, v[7:8], off
	s_wait_loadcnt 0x0
	s_wait_alu 0xfffe
	v_dual_add_f32 v1, v1, v5 :: v_dual_add_nc_u32 v4, s6, v4
	s_delay_alu instid0(VALU_DEP_1) | instskip(NEXT) | instid1(VALU_DEP_2)
	v_cmp_le_i32_e32 vcc_lo, s7, v4
	v_fmac_f32_e32 v3, v1, v1
	s_or_b32 s12, vcc_lo, s12
	global_store_b32 v[7:8], v1, off
	s_and_not1_b32 exec_lo, exec_lo, s12
	s_cbranch_execnz .LBB7_4
; %bb.5:
	s_or_b32 exec_lo, exec_lo, s12
	v_mov_b32_e32 v2, s6
.LBB7_6:
	s_or_b32 exec_lo, exec_lo, s3
	v_mbcnt_lo_u32_b32 v1, -1, 0
	v_and_b32_e32 v5, 0x3c0, v0
	s_mov_b32 s3, exec_lo
	s_delay_alu instid0(VALU_DEP_2) | instskip(NEXT) | instid1(VALU_DEP_2)
	v_cmp_ne_u32_e32 vcc_lo, 63, v1
	v_sub_nc_u32_e64 v5, v2, v5 clamp
	s_wait_alu 0xfffd
	v_add_co_ci_u32_e64 v4, null, 0, v1, vcc_lo
	v_cmp_gt_u32_e32 vcc_lo, 62, v1
	s_delay_alu instid0(VALU_DEP_2)
	v_lshlrev_b32_e32 v4, 2, v4
	s_wait_alu 0xfffd
	v_cndmask_b32_e64 v6, 0, 2, vcc_lo
	ds_bpermute_b32 v4, v4, v3
	v_add_nc_u32_e32 v7, 1, v1
	v_add_lshl_u32 v6, v6, v1, 2
	s_wait_dscnt 0x0
	v_add_f32_e32 v4, v3, v4
	s_delay_alu instid0(VALU_DEP_3) | instskip(SKIP_1) | instid1(VALU_DEP_2)
	v_cmp_lt_u32_e32 vcc_lo, v7, v5
	s_wait_alu 0xfffd
	v_cndmask_b32_e32 v3, v3, v4, vcc_lo
	v_cmp_gt_u32_e32 vcc_lo, 60, v1
	ds_bpermute_b32 v4, v6, v3
	v_add_nc_u32_e32 v7, 2, v1
	s_wait_alu 0xfffd
	v_cndmask_b32_e64 v6, 0, 4, vcc_lo
	s_delay_alu instid0(VALU_DEP_1) | instskip(SKIP_4) | instid1(VALU_DEP_2)
	v_add_lshl_u32 v6, v6, v1, 2
	s_wait_dscnt 0x0
	v_add_f32_e32 v4, v3, v4
	v_cmp_lt_u32_e32 vcc_lo, v7, v5
	s_wait_alu 0xfffd
	v_cndmask_b32_e32 v3, v3, v4, vcc_lo
	v_cmp_gt_u32_e32 vcc_lo, 56, v1
	ds_bpermute_b32 v4, v6, v3
	v_add_nc_u32_e32 v7, 4, v1
	s_wait_alu 0xfffd
	v_cndmask_b32_e64 v6, 0, 8, vcc_lo
	s_delay_alu instid0(VALU_DEP_1) | instskip(SKIP_4) | instid1(VALU_DEP_2)
	v_add_lshl_u32 v6, v6, v1, 2
	s_wait_dscnt 0x0
	v_add_f32_e32 v4, v3, v4
	;; [unrolled: 12-line block ×3, first 2 shown]
	v_cmp_lt_u32_e32 vcc_lo, v7, v5
	s_wait_alu 0xfffd
	v_cndmask_b32_e32 v4, v3, v4, vcc_lo
	ds_bpermute_b32 v3, v6, v4
	v_add_nc_u32_e32 v6, 16, v1
	s_delay_alu instid0(VALU_DEP_1) | instskip(SKIP_3) | instid1(VALU_DEP_1)
	v_cmp_lt_u32_e32 vcc_lo, v6, v5
	s_wait_dscnt 0x0
	v_add_f32_e32 v7, v4, v3
	s_wait_alu 0xfffd
	v_dual_cndmask_b32 v4, v4, v7 :: v_dual_lshlrev_b32 v3, 2, v1
	v_or_b32_e32 v7, 32, v1
	ds_bpermute_b32 v6, v3, v4 offset:128
	v_cmp_lt_u32_e32 vcc_lo, v7, v5
	s_wait_dscnt 0x0
	v_add_f32_e32 v6, v4, v6
	s_wait_alu 0xfffd
	s_delay_alu instid0(VALU_DEP_1)
	v_cndmask_b32_e32 v4, v4, v6, vcc_lo
	v_cmpx_eq_u32_e32 0, v1
; %bb.7:
	v_lshrrev_b32_e32 v5, 4, v0
	s_delay_alu instid0(VALU_DEP_1)
	v_and_b32_e32 v5, 60, v5
	ds_store_b32 v5, v4
; %bb.8:
	s_or_b32 exec_lo, exec_lo, s3
	s_delay_alu instid0(SALU_CYCLE_1)
	s_mov_b32 s4, exec_lo
	s_wait_storecnt_dscnt 0x0
	s_barrier_signal -1
	s_barrier_wait -1
	global_inv scope:SCOPE_SE
	v_cmpx_gt_u32_e32 16, v0
	s_cbranch_execz .LBB7_10
; %bb.9:
	ds_load_b32 v4, v3
	v_and_b32_e32 v5, 15, v1
	v_add_nc_u32_e32 v2, 63, v2
	v_or_b32_e32 v3, 32, v3
	s_delay_alu instid0(VALU_DEP_3) | instskip(NEXT) | instid1(VALU_DEP_3)
	v_cmp_ne_u32_e32 vcc_lo, 15, v5
	v_lshrrev_b32_e32 v2, 6, v2
	s_wait_alu 0xfffd
	v_add_co_ci_u32_e64 v6, null, 0, v1, vcc_lo
	s_delay_alu instid0(VALU_DEP_1)
	v_lshlrev_b32_e32 v6, 2, v6
	s_wait_dscnt 0x0
	ds_bpermute_b32 v6, v6, v4
	s_wait_dscnt 0x0
	v_add_f32_e32 v6, v4, v6
	v_cmp_gt_u32_e32 vcc_lo, 14, v5
	v_add_nc_u32_e32 v8, 1, v5
	v_cmp_gt_u32_e64 s3, 12, v5
	v_add_nc_u32_e32 v9, 2, v5
	s_wait_alu 0xfffd
	v_cndmask_b32_e64 v7, 0, 2, vcc_lo
	v_cmp_lt_u32_e32 vcc_lo, v8, v2
	v_cndmask_b32_e64 v8, 0, 4, s3
	v_cmp_lt_u32_e64 s3, v9, v2
	s_delay_alu instid0(VALU_DEP_4)
	v_add_lshl_u32 v7, v7, v1, 2
	s_wait_alu 0xfffd
	v_cndmask_b32_e32 v6, v4, v6, vcc_lo
	v_add_lshl_u32 v1, v8, v1, 2
	ds_bpermute_b32 v7, v7, v6
	s_wait_dscnt 0x0
	v_add_f32_e32 v7, v6, v7
	s_wait_alu 0xf1ff
	s_delay_alu instid0(VALU_DEP_1)
	v_cndmask_b32_e64 v6, v6, v7, s3
	v_add_nc_u32_e32 v7, 4, v5
	v_add_nc_u32_e32 v5, 8, v5
	ds_bpermute_b32 v1, v1, v6
	v_cmp_lt_u32_e64 s3, v7, v2
	s_wait_dscnt 0x0
	v_add_f32_e32 v1, v6, v1
	s_wait_alu 0xf1ff
	s_delay_alu instid0(VALU_DEP_1)
	v_cndmask_b32_e64 v1, v6, v1, s3
	v_cmp_lt_u32_e64 s3, v5, v2
	ds_bpermute_b32 v3, v3, v1
	s_wait_dscnt 0x0
	v_add_f32_e32 v3, v1, v3
	s_wait_alu 0xf1ff
	s_delay_alu instid0(VALU_DEP_1) | instskip(NEXT) | instid1(VALU_DEP_1)
	v_cndmask_b32_e64 v1, v1, v3, s3
	v_cndmask_b32_e32 v4, v4, v1, vcc_lo
.LBB7_10:
	s_wait_alu 0xfffe
	s_or_b32 exec_lo, exec_lo, s4
	s_delay_alu instid0(SALU_CYCLE_1)
	s_mov_b32 s3, exec_lo
	v_cmpx_eq_u32_e32 0, v0
	s_cbranch_execz .LBB7_12
; %bb.11:
	s_cvt_f32_i32 s4, s7
	s_load_b32 s0, s[0:1], 0x30
	s_delay_alu instid0(SALU_CYCLE_2) | instskip(SKIP_1) | instid1(VALU_DEP_2)
	v_div_scale_f32 v0, null, s4, s4, v4
	v_div_scale_f32 v3, vcc_lo, v4, s4, v4
	v_rcp_f32_e32 v1, v0
	s_delay_alu instid0(TRANS32_DEP_1) | instskip(NEXT) | instid1(VALU_DEP_1)
	v_fma_f32 v2, -v0, v1, 1.0
	v_fmac_f32_e32 v1, v2, v1
	s_delay_alu instid0(VALU_DEP_1) | instskip(NEXT) | instid1(VALU_DEP_1)
	v_mul_f32_e32 v2, v3, v1
	v_fma_f32 v5, -v0, v2, v3
	s_delay_alu instid0(VALU_DEP_1) | instskip(NEXT) | instid1(VALU_DEP_1)
	v_fmac_f32_e32 v2, v5, v1
	v_fma_f32 v0, -v0, v2, v3
	s_wait_alu 0xfffd
	s_delay_alu instid0(VALU_DEP_1) | instskip(NEXT) | instid1(VALU_DEP_1)
	v_div_fmas_f32 v0, v0, v1, v2
	v_div_fixup_f32 v0, v0, s4, v4
	s_wait_kmcnt 0x0
	s_delay_alu instid0(VALU_DEP_1) | instskip(NEXT) | instid1(VALU_DEP_1)
	v_add_f32_e32 v0, s0, v0
	v_mul_f32_e32 v1, 0x4b800000, v0
	v_cmp_gt_f32_e32 vcc_lo, 0x800000, v0
	s_wait_alu 0xfffd
	s_delay_alu instid0(VALU_DEP_2) | instskip(NEXT) | instid1(VALU_DEP_1)
	v_cndmask_b32_e32 v0, v0, v1, vcc_lo
	v_rsq_f32_e32 v0, v0
	s_delay_alu instid0(TRANS32_DEP_1) | instskip(NEXT) | instid1(VALU_DEP_1)
	v_mul_f32_e32 v1, 0x45800000, v0
	v_dual_cndmask_b32 v0, v0, v1 :: v_dual_mov_b32 v1, 0
	ds_store_b32 v1, v0 offset:64
.LBB7_12:
	s_wait_alu 0xfffe
	s_or_b32 exec_lo, exec_lo, s3
	s_wait_loadcnt_dscnt 0x0
	s_barrier_signal -1
	s_barrier_wait -1
	global_inv scope:SCOPE_SE
	s_and_saveexec_b32 s0, s2
	s_cbranch_execnz .LBB7_14
; %bb.13:
	s_endpgm
.LBB7_14:
	s_trap 2
	; divergent unreachable
	s_endpgm
	.section	.rodata,"a",@progbits
	.p2align	6, 0x0
	.amdhsa_kernel _ZN4vllm42fused_add_rms_norm_static_fp8_quant_kernelIfLi8EN3c1015Float8_e4m3fnuzEEENSt9enable_ifIXooeqT0_Li0Entsr12_typeConvertIT_EE6existsEvE4typeEPT1_PS4_iS9_PKS4_PKffii
		.amdhsa_group_segment_fixed_size 68
		.amdhsa_private_segment_fixed_size 0
		.amdhsa_kernarg_size 320
		.amdhsa_user_sgpr_count 2
		.amdhsa_user_sgpr_dispatch_ptr 0
		.amdhsa_user_sgpr_queue_ptr 0
		.amdhsa_user_sgpr_kernarg_segment_ptr 1
		.amdhsa_user_sgpr_dispatch_id 0
		.amdhsa_user_sgpr_private_segment_size 0
		.amdhsa_wavefront_size32 1
		.amdhsa_uses_dynamic_stack 0
		.amdhsa_enable_private_segment 0
		.amdhsa_system_sgpr_workgroup_id_x 1
		.amdhsa_system_sgpr_workgroup_id_y 0
		.amdhsa_system_sgpr_workgroup_id_z 0
		.amdhsa_system_sgpr_workgroup_info 0
		.amdhsa_system_vgpr_workitem_id 0
		.amdhsa_next_free_vgpr 10
		.amdhsa_next_free_sgpr 13
		.amdhsa_reserve_vcc 1
		.amdhsa_float_round_mode_32 0
		.amdhsa_float_round_mode_16_64 0
		.amdhsa_float_denorm_mode_32 3
		.amdhsa_float_denorm_mode_16_64 3
		.amdhsa_fp16_overflow 0
		.amdhsa_workgroup_processor_mode 1
		.amdhsa_memory_ordered 1
		.amdhsa_forward_progress 1
		.amdhsa_inst_pref_size 10
		.amdhsa_round_robin_scheduling 0
		.amdhsa_exception_fp_ieee_invalid_op 0
		.amdhsa_exception_fp_denorm_src 0
		.amdhsa_exception_fp_ieee_div_zero 0
		.amdhsa_exception_fp_ieee_overflow 0
		.amdhsa_exception_fp_ieee_underflow 0
		.amdhsa_exception_fp_ieee_inexact 0
		.amdhsa_exception_int_div_zero 0
	.end_amdhsa_kernel
	.section	.text._ZN4vllm42fused_add_rms_norm_static_fp8_quant_kernelIfLi8EN3c1015Float8_e4m3fnuzEEENSt9enable_ifIXooeqT0_Li0Entsr12_typeConvertIT_EE6existsEvE4typeEPT1_PS4_iS9_PKS4_PKffii,"axG",@progbits,_ZN4vllm42fused_add_rms_norm_static_fp8_quant_kernelIfLi8EN3c1015Float8_e4m3fnuzEEENSt9enable_ifIXooeqT0_Li0Entsr12_typeConvertIT_EE6existsEvE4typeEPT1_PS4_iS9_PKS4_PKffii,comdat
.Lfunc_end7:
	.size	_ZN4vllm42fused_add_rms_norm_static_fp8_quant_kernelIfLi8EN3c1015Float8_e4m3fnuzEEENSt9enable_ifIXooeqT0_Li0Entsr12_typeConvertIT_EE6existsEvE4typeEPT1_PS4_iS9_PKS4_PKffii, .Lfunc_end7-_ZN4vllm42fused_add_rms_norm_static_fp8_quant_kernelIfLi8EN3c1015Float8_e4m3fnuzEEENSt9enable_ifIXooeqT0_Li0Entsr12_typeConvertIT_EE6existsEvE4typeEPT1_PS4_iS9_PKS4_PKffii
                                        ; -- End function
	.set _ZN4vllm42fused_add_rms_norm_static_fp8_quant_kernelIfLi8EN3c1015Float8_e4m3fnuzEEENSt9enable_ifIXooeqT0_Li0Entsr12_typeConvertIT_EE6existsEvE4typeEPT1_PS4_iS9_PKS4_PKffii.num_vgpr, 10
	.set _ZN4vllm42fused_add_rms_norm_static_fp8_quant_kernelIfLi8EN3c1015Float8_e4m3fnuzEEENSt9enable_ifIXooeqT0_Li0Entsr12_typeConvertIT_EE6existsEvE4typeEPT1_PS4_iS9_PKS4_PKffii.num_agpr, 0
	.set _ZN4vllm42fused_add_rms_norm_static_fp8_quant_kernelIfLi8EN3c1015Float8_e4m3fnuzEEENSt9enable_ifIXooeqT0_Li0Entsr12_typeConvertIT_EE6existsEvE4typeEPT1_PS4_iS9_PKS4_PKffii.numbered_sgpr, 13
	.set _ZN4vllm42fused_add_rms_norm_static_fp8_quant_kernelIfLi8EN3c1015Float8_e4m3fnuzEEENSt9enable_ifIXooeqT0_Li0Entsr12_typeConvertIT_EE6existsEvE4typeEPT1_PS4_iS9_PKS4_PKffii.num_named_barrier, 0
	.set _ZN4vllm42fused_add_rms_norm_static_fp8_quant_kernelIfLi8EN3c1015Float8_e4m3fnuzEEENSt9enable_ifIXooeqT0_Li0Entsr12_typeConvertIT_EE6existsEvE4typeEPT1_PS4_iS9_PKS4_PKffii.private_seg_size, 0
	.set _ZN4vllm42fused_add_rms_norm_static_fp8_quant_kernelIfLi8EN3c1015Float8_e4m3fnuzEEENSt9enable_ifIXooeqT0_Li0Entsr12_typeConvertIT_EE6existsEvE4typeEPT1_PS4_iS9_PKS4_PKffii.uses_vcc, 1
	.set _ZN4vllm42fused_add_rms_norm_static_fp8_quant_kernelIfLi8EN3c1015Float8_e4m3fnuzEEENSt9enable_ifIXooeqT0_Li0Entsr12_typeConvertIT_EE6existsEvE4typeEPT1_PS4_iS9_PKS4_PKffii.uses_flat_scratch, 0
	.set _ZN4vllm42fused_add_rms_norm_static_fp8_quant_kernelIfLi8EN3c1015Float8_e4m3fnuzEEENSt9enable_ifIXooeqT0_Li0Entsr12_typeConvertIT_EE6existsEvE4typeEPT1_PS4_iS9_PKS4_PKffii.has_dyn_sized_stack, 0
	.set _ZN4vllm42fused_add_rms_norm_static_fp8_quant_kernelIfLi8EN3c1015Float8_e4m3fnuzEEENSt9enable_ifIXooeqT0_Li0Entsr12_typeConvertIT_EE6existsEvE4typeEPT1_PS4_iS9_PKS4_PKffii.has_recursion, 0
	.set _ZN4vllm42fused_add_rms_norm_static_fp8_quant_kernelIfLi8EN3c1015Float8_e4m3fnuzEEENSt9enable_ifIXooeqT0_Li0Entsr12_typeConvertIT_EE6existsEvE4typeEPT1_PS4_iS9_PKS4_PKffii.has_indirect_call, 0
	.section	.AMDGPU.csdata,"",@progbits
; Kernel info:
; codeLenInByte = 1272
; TotalNumSgprs: 15
; NumVgprs: 10
; ScratchSize: 0
; MemoryBound: 0
; FloatMode: 240
; IeeeMode: 1
; LDSByteSize: 68 bytes/workgroup (compile time only)
; SGPRBlocks: 0
; VGPRBlocks: 1
; NumSGPRsForWavesPerEU: 15
; NumVGPRsForWavesPerEU: 10
; Occupancy: 16
; WaveLimiterHint : 0
; COMPUTE_PGM_RSRC2:SCRATCH_EN: 0
; COMPUTE_PGM_RSRC2:USER_SGPR: 2
; COMPUTE_PGM_RSRC2:TRAP_HANDLER: 0
; COMPUTE_PGM_RSRC2:TGID_X_EN: 1
; COMPUTE_PGM_RSRC2:TGID_Y_EN: 0
; COMPUTE_PGM_RSRC2:TGID_Z_EN: 0
; COMPUTE_PGM_RSRC2:TIDIG_COMP_CNT: 0
	.section	.text._ZN4vllm42fused_add_rms_norm_static_fp8_quant_kernelIN3c104HalfELi8ENS1_13Float8_e4m3fnEEENSt9enable_ifIXaagtT0_Li0Esr12_typeConvertIT_EE6existsEvE4typeEPT1_PS5_iSA_PKS5_PKffii,"axG",@progbits,_ZN4vllm42fused_add_rms_norm_static_fp8_quant_kernelIN3c104HalfELi8ENS1_13Float8_e4m3fnEEENSt9enable_ifIXaagtT0_Li0Esr12_typeConvertIT_EE6existsEvE4typeEPT1_PS5_iSA_PKS5_PKffii,comdat
	.protected	_ZN4vllm42fused_add_rms_norm_static_fp8_quant_kernelIN3c104HalfELi8ENS1_13Float8_e4m3fnEEENSt9enable_ifIXaagtT0_Li0Esr12_typeConvertIT_EE6existsEvE4typeEPT1_PS5_iSA_PKS5_PKffii ; -- Begin function _ZN4vllm42fused_add_rms_norm_static_fp8_quant_kernelIN3c104HalfELi8ENS1_13Float8_e4m3fnEEENSt9enable_ifIXaagtT0_Li0Esr12_typeConvertIT_EE6existsEvE4typeEPT1_PS5_iSA_PKS5_PKffii
	.globl	_ZN4vllm42fused_add_rms_norm_static_fp8_quant_kernelIN3c104HalfELi8ENS1_13Float8_e4m3fnEEENSt9enable_ifIXaagtT0_Li0Esr12_typeConvertIT_EE6existsEvE4typeEPT1_PS5_iSA_PKS5_PKffii
	.p2align	8
	.type	_ZN4vllm42fused_add_rms_norm_static_fp8_quant_kernelIN3c104HalfELi8ENS1_13Float8_e4m3fnEEENSt9enable_ifIXaagtT0_Li0Esr12_typeConvertIT_EE6existsEvE4typeEPT1_PS5_iSA_PKS5_PKffii,@function
_ZN4vllm42fused_add_rms_norm_static_fp8_quant_kernelIN3c104HalfELi8ENS1_13Float8_e4m3fnEEENSt9enable_ifIXaagtT0_Li0Esr12_typeConvertIT_EE6existsEvE4typeEPT1_PS5_iSA_PKS5_PKffii: ; @_ZN4vllm42fused_add_rms_norm_static_fp8_quant_kernelIN3c104HalfELi8ENS1_13Float8_e4m3fnEEENSt9enable_ifIXaagtT0_Li0Esr12_typeConvertIT_EE6existsEvE4typeEPT1_PS5_iSA_PKS5_PKffii
; %bb.0:
	s_clause 0x1
	s_load_b32 s17, s[0:1], 0x38
	s_load_b64 s[12:13], s[0:1], 0x18
	s_mov_b32 s3, exec_lo
                                        ; implicit-def: $sgpr8
	s_wait_kmcnt 0x0
	s_ashr_i32 s2, s17, 31
	s_delay_alu instid0(SALU_CYCLE_1) | instskip(NEXT) | instid1(SALU_CYCLE_1)
	s_lshr_b32 s2, s2, 29
	s_add_co_i32 s2, s17, s2
	s_delay_alu instid0(SALU_CYCLE_1) | instskip(NEXT) | instid1(SALU_CYCLE_1)
	s_ashr_i32 s11, s2, 3
	v_cmp_gt_i32_e64 s2, s11, v0
	v_cmpx_le_i32_e64 s11, v0
	s_xor_b32 s3, exec_lo, s3
	s_cbranch_execz .LBB8_2
; %bb.1:
	s_load_b32 s4, s[0:1], 0x4c
	s_wait_kmcnt 0x0
	s_and_b32 s8, s4, 0xffff
.LBB8_2:
	s_or_saveexec_b32 s3, s3
	s_clause 0x1
	s_load_b64 s[14:15], s[0:1], 0x0
	s_load_b128 s[4:7], s[0:1], 0x20
	v_dual_mov_b32 v2, 0 :: v_dual_mov_b32 v1, s8
	s_mul_i32 s16, s11, ttmp9
	s_xor_b32 exec_lo, exec_lo, s3
	s_cbranch_execz .LBB8_6
; %bb.3:
	s_clause 0x1
	s_load_b96 s[8:10], s[0:1], 0x8
	s_load_b32 s18, s[0:1], 0x4c
	v_dual_mov_b32 v2, 0 :: v_dual_mov_b32 v1, v0
	s_wait_kmcnt 0x0
	s_ashr_i32 s19, s10, 31
	s_delay_alu instid0(SALU_CYCLE_1) | instskip(NEXT) | instid1(SALU_CYCLE_1)
	s_lshr_b32 s19, s19, 29
	s_add_co_i32 s10, s10, s19
	s_wait_alu 0xfffe
	s_ashr_i32 s19, s10, 3
	s_and_b32 s10, s18, 0xffff
	s_mul_i32 s19, s19, ttmp9
	s_mov_b32 s18, 0
.LBB8_4:                                ; =>This Inner Loop Header: Depth=1
	v_add_nc_u32_e32 v3, s19, v1
	v_add_nc_u32_e32 v5, s16, v1
	s_wait_alu 0xfffe
	v_add_nc_u32_e32 v1, s10, v1
	s_delay_alu instid0(VALU_DEP_3) | instskip(NEXT) | instid1(VALU_DEP_3)
	v_ashrrev_i32_e32 v4, 31, v3
	v_ashrrev_i32_e32 v6, 31, v5
	s_delay_alu instid0(VALU_DEP_2) | instskip(NEXT) | instid1(VALU_DEP_2)
	v_lshlrev_b64_e32 v[3:4], 4, v[3:4]
	v_lshlrev_b64_e32 v[5:6], 4, v[5:6]
	s_delay_alu instid0(VALU_DEP_2) | instskip(SKIP_1) | instid1(VALU_DEP_3)
	v_add_co_u32 v3, vcc_lo, s8, v3
	s_wait_alu 0xfffd
	v_add_co_ci_u32_e64 v4, null, s9, v4, vcc_lo
	s_delay_alu instid0(VALU_DEP_3)
	v_add_co_u32 v11, vcc_lo, s12, v5
	s_wait_alu 0xfffd
	v_add_co_ci_u32_e64 v12, null, s13, v6, vcc_lo
	global_load_b128 v[3:6], v[3:4], off
	global_load_b128 v[7:10], v[11:12], off
	v_cmp_le_i32_e32 vcc_lo, s11, v1
	s_or_b32 s18, vcc_lo, s18
	s_wait_loadcnt 0x0
	v_pk_add_f16 v3, v3, v7
	v_pk_add_f16 v4, v4, v8
	v_pk_add_f16 v5, v5, v9
	v_pk_add_f16 v6, v6, v10
	s_delay_alu instid0(VALU_DEP_4) | instskip(NEXT) | instid1(VALU_DEP_4)
	v_lshrrev_b32_e32 v7, 16, v3
	v_lshrrev_b32_e32 v8, 16, v4
	s_delay_alu instid0(VALU_DEP_4) | instskip(NEXT) | instid1(VALU_DEP_4)
	v_lshrrev_b32_e32 v9, 16, v5
	v_lshrrev_b32_e32 v10, 16, v6
	global_store_b128 v[11:12], v[3:6], off
	v_cvt_f32_f16_e32 v7, v7
	v_cvt_f32_f16_e32 v8, v8
	;; [unrolled: 1-line block ×4, first 2 shown]
	s_delay_alu instid0(VALU_DEP_3) | instskip(NEXT) | instid1(VALU_DEP_2)
	v_dual_mul_f32 v7, v7, v7 :: v_dual_mul_f32 v8, v8, v8
	v_dual_mul_f32 v9, v9, v9 :: v_dual_mul_f32 v10, v10, v10
	s_delay_alu instid0(VALU_DEP_2) | instskip(NEXT) | instid1(VALU_DEP_3)
	v_fma_mix_f32 v7, v3, v3, v7 op_sel_hi:[1,1,0]
	v_fma_mix_f32 v8, v4, v4, v8 op_sel_hi:[1,1,0]
	s_delay_alu instid0(VALU_DEP_3) | instskip(NEXT) | instid1(VALU_DEP_2)
	v_fma_mix_f32 v9, v5, v5, v9 op_sel_hi:[1,1,0]
	v_add_f32_e32 v7, v7, v8
	v_fma_mix_f32 v8, v6, v6, v10 op_sel_hi:[1,1,0]
	s_delay_alu instid0(VALU_DEP_2) | instskip(NEXT) | instid1(VALU_DEP_1)
	v_add_f32_e32 v7, v7, v9
	v_add_f32_e32 v7, v7, v8
	s_delay_alu instid0(VALU_DEP_1)
	v_add_f32_e32 v2, v2, v7
	s_wait_alu 0xfffe
	s_and_not1_b32 exec_lo, exec_lo, s18
	s_cbranch_execnz .LBB8_4
; %bb.5:
	s_or_b32 exec_lo, exec_lo, s18
	v_mov_b32_e32 v1, s10
.LBB8_6:
	s_or_b32 exec_lo, exec_lo, s3
	v_mbcnt_lo_u32_b32 v3, -1, 0
	v_and_b32_e32 v5, 0x3c0, v0
	s_mov_b32 s3, exec_lo
	s_delay_alu instid0(VALU_DEP_2) | instskip(NEXT) | instid1(VALU_DEP_2)
	v_cmp_ne_u32_e32 vcc_lo, 63, v3
	v_sub_nc_u32_e64 v5, v1, v5 clamp
	s_wait_alu 0xfffd
	v_add_co_ci_u32_e64 v4, null, 0, v3, vcc_lo
	v_cmp_gt_u32_e32 vcc_lo, 62, v3
	s_delay_alu instid0(VALU_DEP_2)
	v_lshlrev_b32_e32 v4, 2, v4
	s_wait_alu 0xfffd
	v_cndmask_b32_e64 v6, 0, 2, vcc_lo
	ds_bpermute_b32 v4, v4, v2
	v_add_nc_u32_e32 v7, 1, v3
	v_add_lshl_u32 v6, v6, v3, 2
	s_wait_dscnt 0x0
	v_add_f32_e32 v4, v2, v4
	s_delay_alu instid0(VALU_DEP_3) | instskip(SKIP_1) | instid1(VALU_DEP_2)
	v_cmp_lt_u32_e32 vcc_lo, v7, v5
	s_wait_alu 0xfffd
	v_dual_cndmask_b32 v2, v2, v4 :: v_dual_add_nc_u32 v7, 2, v3
	v_cmp_gt_u32_e32 vcc_lo, 60, v3
	ds_bpermute_b32 v4, v6, v2
	s_wait_alu 0xfffd
	v_cndmask_b32_e64 v6, 0, 4, vcc_lo
	v_cmp_lt_u32_e32 vcc_lo, v7, v5
	v_add_nc_u32_e32 v7, 4, v3
	s_delay_alu instid0(VALU_DEP_3) | instskip(SKIP_3) | instid1(VALU_DEP_1)
	v_add_lshl_u32 v6, v6, v3, 2
	s_wait_dscnt 0x0
	v_add_f32_e32 v4, v2, v4
	s_wait_alu 0xfffd
	v_cndmask_b32_e32 v2, v2, v4, vcc_lo
	v_cmp_gt_u32_e32 vcc_lo, 56, v3
	ds_bpermute_b32 v4, v6, v2
	s_wait_alu 0xfffd
	v_cndmask_b32_e64 v6, 0, 8, vcc_lo
	v_cmp_lt_u32_e32 vcc_lo, v7, v5
	v_add_nc_u32_e32 v7, 8, v3
	s_delay_alu instid0(VALU_DEP_3) | instskip(SKIP_3) | instid1(VALU_DEP_1)
	v_add_lshl_u32 v6, v6, v3, 2
	s_wait_dscnt 0x0
	v_add_f32_e32 v4, v2, v4
	s_wait_alu 0xfffd
	v_cndmask_b32_e32 v2, v2, v4, vcc_lo
	v_cmp_gt_u32_e32 vcc_lo, 48, v3
	ds_bpermute_b32 v4, v6, v2
	s_wait_alu 0xfffd
	v_cndmask_b32_e64 v6, 0, 16, vcc_lo
	v_cmp_lt_u32_e32 vcc_lo, v7, v5
	s_delay_alu instid0(VALU_DEP_2) | instskip(SKIP_3) | instid1(VALU_DEP_1)
	v_add_lshl_u32 v6, v6, v3, 2
	s_wait_dscnt 0x0
	v_add_f32_e32 v4, v2, v4
	s_wait_alu 0xfffd
	v_cndmask_b32_e32 v4, v2, v4, vcc_lo
	ds_bpermute_b32 v2, v6, v4
	s_wait_dscnt 0x0
	v_dual_add_f32 v7, v4, v2 :: v_dual_add_nc_u32 v6, 16, v3
	s_delay_alu instid0(VALU_DEP_1) | instskip(SKIP_2) | instid1(VALU_DEP_3)
	v_cmp_lt_u32_e32 vcc_lo, v6, v5
	v_lshlrev_b32_e32 v2, 2, v3
	s_wait_alu 0xfffd
	v_cndmask_b32_e32 v4, v4, v7, vcc_lo
	v_or_b32_e32 v7, 32, v3
	ds_bpermute_b32 v6, v2, v4 offset:128
	v_cmp_lt_u32_e32 vcc_lo, v7, v5
	s_wait_dscnt 0x0
	v_add_f32_e32 v6, v4, v6
	s_wait_alu 0xfffd
	s_delay_alu instid0(VALU_DEP_1)
	v_cndmask_b32_e32 v4, v4, v6, vcc_lo
	v_cmpx_eq_u32_e32 0, v3
; %bb.7:
	v_lshrrev_b32_e32 v5, 4, v0
	s_delay_alu instid0(VALU_DEP_1)
	v_and_b32_e32 v5, 60, v5
	ds_store_b32 v5, v4
; %bb.8:
	s_or_b32 exec_lo, exec_lo, s3
	s_delay_alu instid0(SALU_CYCLE_1)
	s_mov_b32 s8, exec_lo
	s_wait_storecnt_dscnt 0x0
	s_barrier_signal -1
	s_barrier_wait -1
	global_inv scope:SCOPE_SE
	v_cmpx_gt_u32_e32 16, v0
	s_cbranch_execz .LBB8_10
; %bb.9:
	ds_load_b32 v4, v2
	v_and_b32_e32 v5, 15, v3
	v_or_b32_e32 v2, 32, v2
	s_delay_alu instid0(VALU_DEP_2) | instskip(SKIP_2) | instid1(VALU_DEP_1)
	v_cmp_ne_u32_e32 vcc_lo, 15, v5
	s_wait_alu 0xfffd
	v_add_co_ci_u32_e64 v6, null, 0, v3, vcc_lo
	v_lshlrev_b32_e32 v6, 2, v6
	s_wait_dscnt 0x0
	ds_bpermute_b32 v6, v6, v4
	s_wait_dscnt 0x0
	v_dual_add_f32 v6, v4, v6 :: v_dual_add_nc_u32 v7, 63, v1
	v_cmp_gt_u32_e32 vcc_lo, 14, v5
	v_add_nc_u32_e32 v9, 1, v5
	v_cmp_gt_u32_e64 s3, 12, v5
	v_add_nc_u32_e32 v10, 2, v5
	v_lshrrev_b32_e32 v7, 6, v7
	s_wait_alu 0xfffd
	v_cndmask_b32_e64 v8, 0, 2, vcc_lo
	s_delay_alu instid0(VALU_DEP_2) | instskip(NEXT) | instid1(VALU_DEP_2)
	v_cmp_lt_u32_e32 vcc_lo, v9, v7
	v_add_lshl_u32 v8, v8, v3, 2
	v_cndmask_b32_e64 v9, 0, 4, s3
	v_cmp_lt_u32_e64 s3, v10, v7
	s_wait_alu 0xfffd
	v_cndmask_b32_e32 v6, v4, v6, vcc_lo
	s_delay_alu instid0(VALU_DEP_3) | instskip(SKIP_4) | instid1(VALU_DEP_1)
	v_add_lshl_u32 v3, v9, v3, 2
	ds_bpermute_b32 v8, v8, v6
	s_wait_dscnt 0x0
	v_add_f32_e32 v8, v6, v8
	s_wait_alu 0xf1ff
	v_cndmask_b32_e64 v6, v6, v8, s3
	v_add_nc_u32_e32 v8, 4, v5
	ds_bpermute_b32 v3, v3, v6
	v_cmp_lt_u32_e64 s3, v8, v7
	s_wait_dscnt 0x0
	v_add_f32_e32 v3, v6, v3
	s_wait_alu 0xf1ff
	s_delay_alu instid0(VALU_DEP_1) | instskip(SKIP_3) | instid1(VALU_DEP_1)
	v_cndmask_b32_e64 v3, v6, v3, s3
	ds_bpermute_b32 v2, v2, v3
	s_wait_dscnt 0x0
	v_dual_add_f32 v2, v3, v2 :: v_dual_add_nc_u32 v5, 8, v5
	v_cmp_lt_u32_e64 s3, v5, v7
	s_wait_alu 0xf1ff
	s_delay_alu instid0(VALU_DEP_1) | instskip(NEXT) | instid1(VALU_DEP_1)
	v_cndmask_b32_e64 v2, v3, v2, s3
	v_cndmask_b32_e32 v4, v4, v2, vcc_lo
.LBB8_10:
	s_wait_alu 0xfffe
	s_or_b32 exec_lo, exec_lo, s8
	s_delay_alu instid0(SALU_CYCLE_1)
	s_mov_b32 s3, exec_lo
	v_cmpx_eq_u32_e32 0, v0
	s_cbranch_execz .LBB8_12
; %bb.11:
	s_cvt_f32_i32 s8, s17
	s_load_b32 s0, s[0:1], 0x30
	s_delay_alu instid0(SALU_CYCLE_2) | instskip(SKIP_1) | instid1(VALU_DEP_2)
	v_div_scale_f32 v2, null, s8, s8, v4
	v_div_scale_f32 v6, vcc_lo, v4, s8, v4
	v_rcp_f32_e32 v3, v2
	s_delay_alu instid0(TRANS32_DEP_1) | instskip(NEXT) | instid1(VALU_DEP_1)
	v_fma_f32 v5, -v2, v3, 1.0
	v_fmac_f32_e32 v3, v5, v3
	s_delay_alu instid0(VALU_DEP_1) | instskip(NEXT) | instid1(VALU_DEP_1)
	v_mul_f32_e32 v5, v6, v3
	v_fma_f32 v7, -v2, v5, v6
	s_delay_alu instid0(VALU_DEP_1) | instskip(NEXT) | instid1(VALU_DEP_1)
	v_fmac_f32_e32 v5, v7, v3
	v_fma_f32 v2, -v2, v5, v6
	s_wait_alu 0xfffd
	s_delay_alu instid0(VALU_DEP_1) | instskip(NEXT) | instid1(VALU_DEP_1)
	v_div_fmas_f32 v2, v2, v3, v5
	v_div_fixup_f32 v2, v2, s8, v4
	s_wait_kmcnt 0x0
	s_delay_alu instid0(VALU_DEP_1) | instskip(NEXT) | instid1(VALU_DEP_1)
	v_add_f32_e32 v2, s0, v2
	v_mul_f32_e32 v3, 0x4b800000, v2
	v_cmp_gt_f32_e32 vcc_lo, 0x800000, v2
	s_wait_alu 0xfffd
	s_delay_alu instid0(VALU_DEP_2) | instskip(NEXT) | instid1(VALU_DEP_1)
	v_cndmask_b32_e32 v2, v2, v3, vcc_lo
	v_rsq_f32_e32 v2, v2
	s_delay_alu instid0(TRANS32_DEP_1) | instskip(NEXT) | instid1(VALU_DEP_1)
	v_mul_f32_e32 v3, 0x45800000, v2
	v_dual_cndmask_b32 v2, v2, v3 :: v_dual_mov_b32 v3, 0
	ds_store_b32 v3, v2 offset:64
.LBB8_12:
	s_wait_alu 0xfffe
	s_or_b32 exec_lo, exec_lo, s3
	s_wait_loadcnt_dscnt 0x0
	s_barrier_signal -1
	s_barrier_wait -1
	global_inv scope:SCOPE_SE
	s_and_saveexec_b32 s0, s2
	s_cbranch_execz .LBB8_15
; %bb.13:
	s_wait_kmcnt 0x0
	s_load_b32 s0, s[6:7], 0x0
	s_mov_b32 s6, 0x43e00000
	v_lshlrev_b32_e32 v8, 3, v1
	s_wait_kmcnt 0x0
	v_div_scale_f32 v2, null, s0, s0, 1.0
	v_div_scale_f32 v5, vcc_lo, 1.0, s0, 1.0
	s_delay_alu instid0(VALU_DEP_2)
	v_rcp_f32_e32 v3, v2
	v_xor_b32_e32 v4, 0x80000000, v2
	s_delay_alu instid0(TRANS32_DEP_1) | instid1(VALU_DEP_1)
	v_fma_f32 v2, v4, v3, 1.0
	s_delay_alu instid0(VALU_DEP_1) | instskip(NEXT) | instid1(VALU_DEP_1)
	v_dual_fmac_f32 v3, v2, v3 :: v_dual_mov_b32 v2, 0
	v_mul_f32_e32 v9, v5, v3
	ds_load_b32 v7, v2 offset:64
	v_fma_f32 v6, v4, v9, v5
	s_delay_alu instid0(VALU_DEP_1) | instskip(SKIP_1) | instid1(VALU_DEP_2)
	v_fmac_f32_e32 v9, v6, v3
	v_add_lshl_u32 v6, v0, s16, 3
	v_dual_fmac_f32 v5, v4, v9 :: v_dual_lshlrev_b32 v4, 4, v0
	s_wait_alu 0xfffd
	s_delay_alu instid0(VALU_DEP_1) | instskip(NEXT) | instid1(VALU_DEP_2)
	v_div_fmas_f32 v5, v5, v3, v9
	v_add_co_u32 v4, s1, s4, v4
	s_wait_alu 0xf1ff
	v_add_co_ci_u32_e64 v10, null, s5, 0, s1
	v_lshlrev_b64_e32 v[2:3], 4, v[1:2]
	s_delay_alu instid0(VALU_DEP_3)
	v_add_co_u32 v4, vcc_lo, v4, 8
	v_div_fixup_f32 v9, v5, s0, 1.0
	s_wait_alu 0xfffd
	v_add_co_ci_u32_e64 v5, null, 0, v10, vcc_lo
	s_mov_b32 s5, 0
.LBB8_14:                               ; =>This Inner Loop Header: Depth=1
	v_dual_mov_b32 v19, 0 :: v_dual_add_nc_u32 v10, s16, v0
	v_ashrrev_i32_e32 v20, 31, v6
	v_dual_mov_b32 v21, 0 :: v_dual_mov_b32 v22, 0
	s_delay_alu instid0(VALU_DEP_3) | instskip(SKIP_2) | instid1(VALU_DEP_3)
	v_ashrrev_i32_e32 v11, 31, v10
	v_dual_mov_b32 v23, 0 :: v_dual_mov_b32 v24, 0
	v_dual_mov_b32 v25, 0 :: v_dual_mov_b32 v26, 0
	v_lshlrev_b64_e32 v[10:11], 4, v[10:11]
	v_dual_mov_b32 v27, 0 :: v_dual_add_nc_u32 v0, v0, v1
	s_delay_alu instid0(VALU_DEP_2) | instskip(SKIP_1) | instid1(VALU_DEP_3)
	v_add_co_u32 v10, vcc_lo, s12, v10
	s_wait_alu 0xfffd
	v_add_co_ci_u32_e64 v11, null, s13, v11, vcc_lo
	v_add_co_u32 v18, vcc_lo, s14, v6
	global_load_b128 v[10:13], v[10:11], off
	global_load_b128 v[14:17], v[4:5], off offset:-8
	v_add_co_u32 v4, s0, v4, v2
	s_wait_alu 0xf1ff
	v_add_co_ci_u32_e64 v5, null, v5, v3, s0
	s_wait_loadcnt_dscnt 0x100
	v_fma_mixlo_f16 v29, v7, v11, 0 op_sel_hi:[0,1,0]
	v_fma_mixlo_f16 v30, v7, v12, 0 op_sel_hi:[0,1,0]
	;; [unrolled: 1-line block ×4, first 2 shown]
	s_delay_alu instid0(VALU_DEP_4) | instskip(NEXT) | instid1(VALU_DEP_4)
	v_fma_mixhi_f16 v29, v7, v11, 0 op_sel:[0,1,0] op_sel_hi:[0,1,0]
	v_fma_mixhi_f16 v30, v7, v12, 0 op_sel:[0,1,0] op_sel_hi:[0,1,0]
	s_delay_alu instid0(VALU_DEP_4) | instskip(NEXT) | instid1(VALU_DEP_4)
	v_fma_mixhi_f16 v28, v7, v10, 0 op_sel:[0,1,0] op_sel_hi:[0,1,0]
	v_fma_mixhi_f16 v31, v7, v13, 0 op_sel:[0,1,0] op_sel_hi:[0,1,0]
	s_wait_loadcnt 0x0
	v_pk_mul_f16 v11, v29, v15
	v_pk_mul_f16 v12, v30, v16
	;; [unrolled: 1-line block ×4, first 2 shown]
	s_delay_alu instid0(VALU_DEP_4) | instskip(NEXT) | instid1(VALU_DEP_4)
	v_lshrrev_b32_e32 v15, 16, v11
	v_lshrrev_b32_e32 v16, 16, v12
	v_cvt_f32_f16_e32 v11, v11
	v_cvt_f32_f16_e32 v12, v12
	v_add_nc_u32_e32 v6, v6, v8
	v_lshrrev_b32_e32 v14, 16, v10
	v_cvt_f32_f16_e32 v16, v16
	v_mul_f32_e32 v11, v9, v11
	v_mul_f32_e32 v12, v9, v12
	v_cvt_f32_f16_e32 v10, v10
	v_lshrrev_b32_e32 v17, 16, v13
	v_mul_f32_e32 v16, v9, v16
	v_minmax_num_f32 v11, v11, s6, 0xc3e00000
	v_minmax_num_f32 v12, v12, s6, 0xc3e00000
	v_cvt_f32_f16_e32 v13, v13
	v_cvt_f32_f16_e32 v14, v14
	v_minmax_num_f32 v16, v16, s6, 0xc3e00000
	v_med3_num_f32 v29, v11, s6, 0xc3e00000
	v_cmp_nlg_f32_e64 s1, 0x7f800000, |v11|
	v_med3_num_f32 v30, v12, s6, 0xc3e00000
	v_cmp_nlg_f32_e64 s2, 0x7f800000, |v12|
	v_mul_f32_e32 v13, v9, v13
	v_cvt_f32_f16_e32 v17, v17
	s_wait_alu 0xf1ff
	v_cndmask_b32_e64 v11, v29, v11, s1
	v_mul_f32_e32 v14, v9, v14
	v_cndmask_b32_e64 v12, v30, v12, s2
	v_med3_num_f32 v30, v16, s6, 0xc3e00000
	v_cmp_nlg_f32_e64 s2, 0x7f800000, |v16|
	v_cvt_pk_fp8_f32 v22, v11, v11
	v_minmax_num_f32 v13, v13, s6, 0xc3e00000
	v_cvt_pk_fp8_f32 v24, v12, v12
	v_mul_f32_e32 v10, v9, v10
	s_wait_alu 0xf1ff
	v_cndmask_b32_e64 v11, v30, v16, s2
	v_mul_f32_e32 v17, v9, v17
	v_minmax_num_f32 v14, v14, s6, 0xc3e00000
	v_med3_num_f32 v31, v13, s6, 0xc3e00000
	v_cmp_nlg_f32_e64 s3, 0x7f800000, |v13|
	v_cvt_pk_fp8_f32 v25, v11, v11
	v_and_b32_e32 v11, 0xff, v24
	v_minmax_num_f32 v10, v10, s6, 0xc3e00000
	v_minmax_num_f32 v17, v17, s6, 0xc3e00000
	s_wait_alu 0xf1ff
	v_cndmask_b32_e64 v13, v31, v13, s3
	v_cvt_f32_f16_e32 v15, v15
	v_med3_num_f32 v28, v10, s6, 0xc3e00000
	v_cmp_nlg_f32_e64 s4, 0x7f800000, |v10|
	v_med3_num_f32 v31, v17, s6, 0xc3e00000
	v_cmp_nlg_f32_e64 s3, 0x7f800000, |v17|
	v_cvt_pk_fp8_f32 v26, v13, v13
	v_lshlrev_b16 v13, 8, v25
	s_wait_alu 0xf1ff
	v_cndmask_b32_e64 v10, v28, v10, s4
	v_med3_num_f32 v28, v14, s6, 0xc3e00000
	v_cmp_nlg_f32_e64 s4, 0x7f800000, |v14|
	v_and_b32_e32 v12, 0xff, v26
	s_delay_alu instid0(VALU_DEP_4) | instskip(SKIP_1) | instid1(VALU_DEP_3)
	v_cvt_pk_fp8_f32 v19, v10, v10
	s_wait_alu 0xf1ff
	v_cndmask_b32_e64 v10, v28, v14, s4
	v_cndmask_b32_e64 v14, v31, v17, s3
	s_delay_alu instid0(VALU_DEP_2) | instskip(NEXT) | instid1(VALU_DEP_2)
	v_cvt_pk_fp8_f32 v21, v10, v10
	v_cvt_pk_fp8_f32 v27, v14, v14
	v_or_b32_e32 v10, v11, v13
	v_mul_f32_e32 v15, v9, v15
	s_delay_alu instid0(VALU_DEP_3) | instskip(NEXT) | instid1(VALU_DEP_1)
	v_lshlrev_b16 v14, 8, v27
	v_or_b32_e32 v11, v12, v14
	s_delay_alu instid0(VALU_DEP_4) | instskip(NEXT) | instid1(VALU_DEP_4)
	v_and_b32_e32 v14, 0xffff, v10
	v_minmax_num_f32 v15, v15, s6, 0xc3e00000
	v_perm_b32 v12, v19, v21, 0xc0c0004
	s_wait_alu 0xfffd
	v_add_co_ci_u32_e64 v19, null, s15, v20, vcc_lo
	v_lshlrev_b32_e32 v11, 16, v11
	v_med3_num_f32 v29, v15, s6, 0xc3e00000
	v_cmp_nlg_f32_e64 s1, 0x7f800000, |v15|
	v_cmp_le_i32_e32 vcc_lo, s11, v0
	s_delay_alu instid0(VALU_DEP_4) | instskip(SKIP_1) | instid1(VALU_DEP_3)
	v_or_b32_e32 v11, v14, v11
	s_wait_alu 0xf1ff
	v_cndmask_b32_e64 v15, v29, v15, s1
	s_wait_alu 0xfffe
	s_or_b32 s5, vcc_lo, s5
	s_delay_alu instid0(VALU_DEP_1) | instskip(NEXT) | instid1(VALU_DEP_1)
	v_cvt_pk_fp8_f32 v23, v15, v15
	v_perm_b32 v13, v22, v23, 0xc0c0004
	s_delay_alu instid0(VALU_DEP_1)
	v_lshl_or_b32 v10, v13, 16, v12
	global_store_b64 v[18:19], v[10:11], off
	s_wait_alu 0xfffe
	s_and_not1_b32 exec_lo, exec_lo, s5
	s_cbranch_execnz .LBB8_14
.LBB8_15:
	s_endpgm
	.section	.rodata,"a",@progbits
	.p2align	6, 0x0
	.amdhsa_kernel _ZN4vllm42fused_add_rms_norm_static_fp8_quant_kernelIN3c104HalfELi8ENS1_13Float8_e4m3fnEEENSt9enable_ifIXaagtT0_Li0Esr12_typeConvertIT_EE6existsEvE4typeEPT1_PS5_iSA_PKS5_PKffii
		.amdhsa_group_segment_fixed_size 68
		.amdhsa_private_segment_fixed_size 0
		.amdhsa_kernarg_size 320
		.amdhsa_user_sgpr_count 2
		.amdhsa_user_sgpr_dispatch_ptr 0
		.amdhsa_user_sgpr_queue_ptr 0
		.amdhsa_user_sgpr_kernarg_segment_ptr 1
		.amdhsa_user_sgpr_dispatch_id 0
		.amdhsa_user_sgpr_private_segment_size 0
		.amdhsa_wavefront_size32 1
		.amdhsa_uses_dynamic_stack 0
		.amdhsa_enable_private_segment 0
		.amdhsa_system_sgpr_workgroup_id_x 1
		.amdhsa_system_sgpr_workgroup_id_y 0
		.amdhsa_system_sgpr_workgroup_id_z 0
		.amdhsa_system_sgpr_workgroup_info 0
		.amdhsa_system_vgpr_workitem_id 0
		.amdhsa_next_free_vgpr 32
		.amdhsa_next_free_sgpr 20
		.amdhsa_reserve_vcc 1
		.amdhsa_float_round_mode_32 0
		.amdhsa_float_round_mode_16_64 0
		.amdhsa_float_denorm_mode_32 3
		.amdhsa_float_denorm_mode_16_64 3
		.amdhsa_fp16_overflow 0
		.amdhsa_workgroup_processor_mode 1
		.amdhsa_memory_ordered 1
		.amdhsa_forward_progress 1
		.amdhsa_inst_pref_size 21
		.amdhsa_round_robin_scheduling 0
		.amdhsa_exception_fp_ieee_invalid_op 0
		.amdhsa_exception_fp_denorm_src 0
		.amdhsa_exception_fp_ieee_div_zero 0
		.amdhsa_exception_fp_ieee_overflow 0
		.amdhsa_exception_fp_ieee_underflow 0
		.amdhsa_exception_fp_ieee_inexact 0
		.amdhsa_exception_int_div_zero 0
	.end_amdhsa_kernel
	.section	.text._ZN4vllm42fused_add_rms_norm_static_fp8_quant_kernelIN3c104HalfELi8ENS1_13Float8_e4m3fnEEENSt9enable_ifIXaagtT0_Li0Esr12_typeConvertIT_EE6existsEvE4typeEPT1_PS5_iSA_PKS5_PKffii,"axG",@progbits,_ZN4vllm42fused_add_rms_norm_static_fp8_quant_kernelIN3c104HalfELi8ENS1_13Float8_e4m3fnEEENSt9enable_ifIXaagtT0_Li0Esr12_typeConvertIT_EE6existsEvE4typeEPT1_PS5_iSA_PKS5_PKffii,comdat
.Lfunc_end8:
	.size	_ZN4vllm42fused_add_rms_norm_static_fp8_quant_kernelIN3c104HalfELi8ENS1_13Float8_e4m3fnEEENSt9enable_ifIXaagtT0_Li0Esr12_typeConvertIT_EE6existsEvE4typeEPT1_PS5_iSA_PKS5_PKffii, .Lfunc_end8-_ZN4vllm42fused_add_rms_norm_static_fp8_quant_kernelIN3c104HalfELi8ENS1_13Float8_e4m3fnEEENSt9enable_ifIXaagtT0_Li0Esr12_typeConvertIT_EE6existsEvE4typeEPT1_PS5_iSA_PKS5_PKffii
                                        ; -- End function
	.set _ZN4vllm42fused_add_rms_norm_static_fp8_quant_kernelIN3c104HalfELi8ENS1_13Float8_e4m3fnEEENSt9enable_ifIXaagtT0_Li0Esr12_typeConvertIT_EE6existsEvE4typeEPT1_PS5_iSA_PKS5_PKffii.num_vgpr, 32
	.set _ZN4vllm42fused_add_rms_norm_static_fp8_quant_kernelIN3c104HalfELi8ENS1_13Float8_e4m3fnEEENSt9enable_ifIXaagtT0_Li0Esr12_typeConvertIT_EE6existsEvE4typeEPT1_PS5_iSA_PKS5_PKffii.num_agpr, 0
	.set _ZN4vllm42fused_add_rms_norm_static_fp8_quant_kernelIN3c104HalfELi8ENS1_13Float8_e4m3fnEEENSt9enable_ifIXaagtT0_Li0Esr12_typeConvertIT_EE6existsEvE4typeEPT1_PS5_iSA_PKS5_PKffii.numbered_sgpr, 20
	.set _ZN4vllm42fused_add_rms_norm_static_fp8_quant_kernelIN3c104HalfELi8ENS1_13Float8_e4m3fnEEENSt9enable_ifIXaagtT0_Li0Esr12_typeConvertIT_EE6existsEvE4typeEPT1_PS5_iSA_PKS5_PKffii.num_named_barrier, 0
	.set _ZN4vllm42fused_add_rms_norm_static_fp8_quant_kernelIN3c104HalfELi8ENS1_13Float8_e4m3fnEEENSt9enable_ifIXaagtT0_Li0Esr12_typeConvertIT_EE6existsEvE4typeEPT1_PS5_iSA_PKS5_PKffii.private_seg_size, 0
	.set _ZN4vllm42fused_add_rms_norm_static_fp8_quant_kernelIN3c104HalfELi8ENS1_13Float8_e4m3fnEEENSt9enable_ifIXaagtT0_Li0Esr12_typeConvertIT_EE6existsEvE4typeEPT1_PS5_iSA_PKS5_PKffii.uses_vcc, 1
	.set _ZN4vllm42fused_add_rms_norm_static_fp8_quant_kernelIN3c104HalfELi8ENS1_13Float8_e4m3fnEEENSt9enable_ifIXaagtT0_Li0Esr12_typeConvertIT_EE6existsEvE4typeEPT1_PS5_iSA_PKS5_PKffii.uses_flat_scratch, 0
	.set _ZN4vllm42fused_add_rms_norm_static_fp8_quant_kernelIN3c104HalfELi8ENS1_13Float8_e4m3fnEEENSt9enable_ifIXaagtT0_Li0Esr12_typeConvertIT_EE6existsEvE4typeEPT1_PS5_iSA_PKS5_PKffii.has_dyn_sized_stack, 0
	.set _ZN4vllm42fused_add_rms_norm_static_fp8_quant_kernelIN3c104HalfELi8ENS1_13Float8_e4m3fnEEENSt9enable_ifIXaagtT0_Li0Esr12_typeConvertIT_EE6existsEvE4typeEPT1_PS5_iSA_PKS5_PKffii.has_recursion, 0
	.set _ZN4vllm42fused_add_rms_norm_static_fp8_quant_kernelIN3c104HalfELi8ENS1_13Float8_e4m3fnEEENSt9enable_ifIXaagtT0_Li0Esr12_typeConvertIT_EE6existsEvE4typeEPT1_PS5_iSA_PKS5_PKffii.has_indirect_call, 0
	.section	.AMDGPU.csdata,"",@progbits
; Kernel info:
; codeLenInByte = 2628
; TotalNumSgprs: 22
; NumVgprs: 32
; ScratchSize: 0
; MemoryBound: 0
; FloatMode: 240
; IeeeMode: 1
; LDSByteSize: 68 bytes/workgroup (compile time only)
; SGPRBlocks: 0
; VGPRBlocks: 3
; NumSGPRsForWavesPerEU: 22
; NumVGPRsForWavesPerEU: 32
; Occupancy: 16
; WaveLimiterHint : 0
; COMPUTE_PGM_RSRC2:SCRATCH_EN: 0
; COMPUTE_PGM_RSRC2:USER_SGPR: 2
; COMPUTE_PGM_RSRC2:TRAP_HANDLER: 0
; COMPUTE_PGM_RSRC2:TGID_X_EN: 1
; COMPUTE_PGM_RSRC2:TGID_Y_EN: 0
; COMPUTE_PGM_RSRC2:TGID_Z_EN: 0
; COMPUTE_PGM_RSRC2:TIDIG_COMP_CNT: 0
	.section	.text._ZN4vllm42fused_add_rms_norm_static_fp8_quant_kernelIN3c104HalfELi8ENS1_15Float8_e4m3fnuzEEENSt9enable_ifIXaagtT0_Li0Esr12_typeConvertIT_EE6existsEvE4typeEPT1_PS5_iSA_PKS5_PKffii,"axG",@progbits,_ZN4vllm42fused_add_rms_norm_static_fp8_quant_kernelIN3c104HalfELi8ENS1_15Float8_e4m3fnuzEEENSt9enable_ifIXaagtT0_Li0Esr12_typeConvertIT_EE6existsEvE4typeEPT1_PS5_iSA_PKS5_PKffii,comdat
	.protected	_ZN4vllm42fused_add_rms_norm_static_fp8_quant_kernelIN3c104HalfELi8ENS1_15Float8_e4m3fnuzEEENSt9enable_ifIXaagtT0_Li0Esr12_typeConvertIT_EE6existsEvE4typeEPT1_PS5_iSA_PKS5_PKffii ; -- Begin function _ZN4vllm42fused_add_rms_norm_static_fp8_quant_kernelIN3c104HalfELi8ENS1_15Float8_e4m3fnuzEEENSt9enable_ifIXaagtT0_Li0Esr12_typeConvertIT_EE6existsEvE4typeEPT1_PS5_iSA_PKS5_PKffii
	.globl	_ZN4vllm42fused_add_rms_norm_static_fp8_quant_kernelIN3c104HalfELi8ENS1_15Float8_e4m3fnuzEEENSt9enable_ifIXaagtT0_Li0Esr12_typeConvertIT_EE6existsEvE4typeEPT1_PS5_iSA_PKS5_PKffii
	.p2align	8
	.type	_ZN4vllm42fused_add_rms_norm_static_fp8_quant_kernelIN3c104HalfELi8ENS1_15Float8_e4m3fnuzEEENSt9enable_ifIXaagtT0_Li0Esr12_typeConvertIT_EE6existsEvE4typeEPT1_PS5_iSA_PKS5_PKffii,@function
_ZN4vllm42fused_add_rms_norm_static_fp8_quant_kernelIN3c104HalfELi8ENS1_15Float8_e4m3fnuzEEENSt9enable_ifIXaagtT0_Li0Esr12_typeConvertIT_EE6existsEvE4typeEPT1_PS5_iSA_PKS5_PKffii: ; @_ZN4vllm42fused_add_rms_norm_static_fp8_quant_kernelIN3c104HalfELi8ENS1_15Float8_e4m3fnuzEEENSt9enable_ifIXaagtT0_Li0Esr12_typeConvertIT_EE6existsEvE4typeEPT1_PS5_iSA_PKS5_PKffii
; %bb.0:
	s_load_b32 s7, s[0:1], 0x38
	s_mov_b32 s5, exec_lo
                                        ; implicit-def: $sgpr4
	s_wait_kmcnt 0x0
	s_ashr_i32 s2, s7, 31
	s_delay_alu instid0(SALU_CYCLE_1) | instskip(NEXT) | instid1(SALU_CYCLE_1)
	s_lshr_b32 s2, s2, 29
	s_add_co_i32 s2, s7, s2
	s_delay_alu instid0(SALU_CYCLE_1) | instskip(NEXT) | instid1(SALU_CYCLE_1)
	s_ashr_i32 s3, s2, 3
	v_cmp_gt_i32_e64 s2, s3, v0
	v_cmpx_le_i32_e64 s3, v0
	s_xor_b32 s5, exec_lo, s5
	s_cbranch_execz .LBB9_2
; %bb.1:
	s_load_b32 s4, s[0:1], 0x4c
	s_wait_kmcnt 0x0
	s_and_b32 s4, s4, 0xffff
.LBB9_2:
	s_or_saveexec_b32 s10, s5
	v_mov_b32_e32 v1, 0
	v_mov_b32_e32 v3, s4
	s_xor_b32 exec_lo, exec_lo, s10
	s_cbranch_execz .LBB9_6
; %bb.3:
	s_clause 0x2
	s_load_b96 s[4:6], s[0:1], 0x8
	s_load_b32 s12, s[0:1], 0x4c
	s_load_b64 s[8:9], s[0:1], 0x18
	v_dual_mov_b32 v1, 0 :: v_dual_mov_b32 v2, v0
	s_mul_i32 s11, s3, ttmp9
	s_wait_kmcnt 0x0
	s_ashr_i32 s13, s6, 31
	s_delay_alu instid0(SALU_CYCLE_1) | instskip(NEXT) | instid1(SALU_CYCLE_1)
	s_lshr_b32 s13, s13, 29
	s_add_co_i32 s6, s6, s13
	s_delay_alu instid0(SALU_CYCLE_1)
	s_ashr_i32 s13, s6, 3
	s_and_b32 s6, s12, 0xffff
	s_mul_i32 s13, s13, ttmp9
	s_mov_b32 s12, 0
.LBB9_4:                                ; =>This Inner Loop Header: Depth=1
	v_add_nc_u32_e32 v3, s13, v2
	v_add_nc_u32_e32 v5, s11, v2
	;; [unrolled: 1-line block ×3, first 2 shown]
	s_delay_alu instid0(VALU_DEP_3) | instskip(NEXT) | instid1(VALU_DEP_3)
	v_ashrrev_i32_e32 v4, 31, v3
	v_ashrrev_i32_e32 v6, 31, v5
	s_delay_alu instid0(VALU_DEP_2) | instskip(NEXT) | instid1(VALU_DEP_2)
	v_lshlrev_b64_e32 v[3:4], 4, v[3:4]
	v_lshlrev_b64_e32 v[5:6], 4, v[5:6]
	s_delay_alu instid0(VALU_DEP_2) | instskip(SKIP_1) | instid1(VALU_DEP_3)
	v_add_co_u32 v3, vcc_lo, s4, v3
	s_wait_alu 0xfffd
	v_add_co_ci_u32_e64 v4, null, s5, v4, vcc_lo
	s_delay_alu instid0(VALU_DEP_3)
	v_add_co_u32 v11, vcc_lo, s8, v5
	s_wait_alu 0xfffd
	v_add_co_ci_u32_e64 v12, null, s9, v6, vcc_lo
	global_load_b128 v[3:6], v[3:4], off
	global_load_b128 v[7:10], v[11:12], off
	v_cmp_le_i32_e32 vcc_lo, s3, v2
	s_or_b32 s12, vcc_lo, s12
	s_wait_loadcnt 0x0
	v_pk_add_f16 v3, v3, v7
	v_pk_add_f16 v4, v4, v8
	;; [unrolled: 1-line block ×4, first 2 shown]
	s_delay_alu instid0(VALU_DEP_4) | instskip(NEXT) | instid1(VALU_DEP_4)
	v_lshrrev_b32_e32 v7, 16, v3
	v_lshrrev_b32_e32 v8, 16, v4
	s_delay_alu instid0(VALU_DEP_4) | instskip(NEXT) | instid1(VALU_DEP_4)
	v_lshrrev_b32_e32 v9, 16, v5
	v_lshrrev_b32_e32 v10, 16, v6
	global_store_b128 v[11:12], v[3:6], off
	v_cvt_f32_f16_e32 v7, v7
	v_cvt_f32_f16_e32 v8, v8
	;; [unrolled: 1-line block ×4, first 2 shown]
	s_delay_alu instid0(VALU_DEP_3) | instskip(NEXT) | instid1(VALU_DEP_2)
	v_dual_mul_f32 v7, v7, v7 :: v_dual_mul_f32 v8, v8, v8
	v_dual_mul_f32 v9, v9, v9 :: v_dual_mul_f32 v10, v10, v10
	s_delay_alu instid0(VALU_DEP_2) | instskip(NEXT) | instid1(VALU_DEP_3)
	v_fma_mix_f32 v7, v3, v3, v7 op_sel_hi:[1,1,0]
	v_fma_mix_f32 v8, v4, v4, v8 op_sel_hi:[1,1,0]
	s_delay_alu instid0(VALU_DEP_3) | instskip(NEXT) | instid1(VALU_DEP_2)
	v_fma_mix_f32 v9, v5, v5, v9 op_sel_hi:[1,1,0]
	v_add_f32_e32 v7, v7, v8
	v_fma_mix_f32 v8, v6, v6, v10 op_sel_hi:[1,1,0]
	s_delay_alu instid0(VALU_DEP_2) | instskip(NEXT) | instid1(VALU_DEP_1)
	v_add_f32_e32 v7, v7, v9
	v_add_f32_e32 v7, v7, v8
	s_delay_alu instid0(VALU_DEP_1)
	v_add_f32_e32 v1, v1, v7
	s_wait_alu 0xfffe
	s_and_not1_b32 exec_lo, exec_lo, s12
	s_cbranch_execnz .LBB9_4
; %bb.5:
	s_or_b32 exec_lo, exec_lo, s12
	v_mov_b32_e32 v3, s6
.LBB9_6:
	s_or_b32 exec_lo, exec_lo, s10
	v_mbcnt_lo_u32_b32 v2, -1, 0
	v_and_b32_e32 v5, 0x3c0, v0
	s_mov_b32 s3, exec_lo
	s_delay_alu instid0(VALU_DEP_2) | instskip(NEXT) | instid1(VALU_DEP_2)
	v_cmp_ne_u32_e32 vcc_lo, 63, v2
	v_sub_nc_u32_e64 v5, v3, v5 clamp
	s_wait_alu 0xfffd
	v_add_co_ci_u32_e64 v4, null, 0, v2, vcc_lo
	v_cmp_gt_u32_e32 vcc_lo, 62, v2
	s_delay_alu instid0(VALU_DEP_2)
	v_lshlrev_b32_e32 v4, 2, v4
	s_wait_alu 0xfffd
	v_cndmask_b32_e64 v6, 0, 2, vcc_lo
	ds_bpermute_b32 v4, v4, v1
	v_add_nc_u32_e32 v7, 1, v2
	v_add_lshl_u32 v6, v6, v2, 2
	s_wait_dscnt 0x0
	v_add_f32_e32 v4, v1, v4
	s_delay_alu instid0(VALU_DEP_3) | instskip(SKIP_1) | instid1(VALU_DEP_2)
	v_cmp_lt_u32_e32 vcc_lo, v7, v5
	s_wait_alu 0xfffd
	v_cndmask_b32_e32 v1, v1, v4, vcc_lo
	v_cmp_gt_u32_e32 vcc_lo, 60, v2
	ds_bpermute_b32 v4, v6, v1
	v_add_nc_u32_e32 v7, 2, v2
	s_wait_alu 0xfffd
	v_cndmask_b32_e64 v6, 0, 4, vcc_lo
	s_delay_alu instid0(VALU_DEP_1) | instskip(SKIP_4) | instid1(VALU_DEP_2)
	v_add_lshl_u32 v6, v6, v2, 2
	s_wait_dscnt 0x0
	v_add_f32_e32 v4, v1, v4
	v_cmp_lt_u32_e32 vcc_lo, v7, v5
	s_wait_alu 0xfffd
	v_cndmask_b32_e32 v1, v1, v4, vcc_lo
	v_cmp_gt_u32_e32 vcc_lo, 56, v2
	ds_bpermute_b32 v4, v6, v1
	v_add_nc_u32_e32 v7, 4, v2
	s_wait_alu 0xfffd
	v_cndmask_b32_e64 v6, 0, 8, vcc_lo
	s_delay_alu instid0(VALU_DEP_1) | instskip(SKIP_4) | instid1(VALU_DEP_2)
	v_add_lshl_u32 v6, v6, v2, 2
	s_wait_dscnt 0x0
	v_add_f32_e32 v4, v1, v4
	;; [unrolled: 12-line block ×3, first 2 shown]
	v_cmp_lt_u32_e32 vcc_lo, v7, v5
	s_wait_alu 0xfffd
	v_cndmask_b32_e32 v4, v1, v4, vcc_lo
	ds_bpermute_b32 v1, v6, v4
	v_add_nc_u32_e32 v6, 16, v2
	s_delay_alu instid0(VALU_DEP_1) | instskip(SKIP_3) | instid1(VALU_DEP_1)
	v_cmp_lt_u32_e32 vcc_lo, v6, v5
	s_wait_dscnt 0x0
	v_add_f32_e32 v7, v4, v1
	s_wait_alu 0xfffd
	v_dual_cndmask_b32 v4, v4, v7 :: v_dual_lshlrev_b32 v1, 2, v2
	v_or_b32_e32 v7, 32, v2
	ds_bpermute_b32 v6, v1, v4 offset:128
	v_cmp_lt_u32_e32 vcc_lo, v7, v5
	s_wait_dscnt 0x0
	v_add_f32_e32 v6, v4, v6
	s_wait_alu 0xfffd
	s_delay_alu instid0(VALU_DEP_1)
	v_cndmask_b32_e32 v4, v4, v6, vcc_lo
	v_cmpx_eq_u32_e32 0, v2
; %bb.7:
	v_lshrrev_b32_e32 v5, 4, v0
	s_delay_alu instid0(VALU_DEP_1)
	v_and_b32_e32 v5, 60, v5
	ds_store_b32 v5, v4
; %bb.8:
	s_wait_alu 0xfffe
	s_or_b32 exec_lo, exec_lo, s3
	s_delay_alu instid0(SALU_CYCLE_1)
	s_mov_b32 s4, exec_lo
	s_wait_storecnt_dscnt 0x0
	s_barrier_signal -1
	s_barrier_wait -1
	global_inv scope:SCOPE_SE
	v_cmpx_gt_u32_e32 16, v0
	s_cbranch_execz .LBB9_10
; %bb.9:
	ds_load_b32 v4, v1
	v_and_b32_e32 v5, 15, v2
	v_or_b32_e32 v1, 32, v1
	s_delay_alu instid0(VALU_DEP_2)
	v_cmp_ne_u32_e32 vcc_lo, 15, v5
	v_add_nc_u32_e32 v8, 1, v5
	v_cmp_gt_u32_e64 s3, 12, v5
	v_add_nc_u32_e32 v9, 2, v5
	s_wait_alu 0xfffd
	v_add_co_ci_u32_e64 v6, null, 0, v2, vcc_lo
	v_cmp_gt_u32_e32 vcc_lo, 14, v5
	s_delay_alu instid0(VALU_DEP_2)
	v_lshlrev_b32_e32 v6, 2, v6
	s_wait_alu 0xfffd
	v_cndmask_b32_e64 v7, 0, 2, vcc_lo
	s_wait_dscnt 0x0
	ds_bpermute_b32 v6, v6, v4
	v_add_nc_u32_e32 v3, 63, v3
	v_add_lshl_u32 v7, v7, v2, 2
	s_wait_dscnt 0x0
	v_add_f32_e32 v6, v4, v6
	s_delay_alu instid0(VALU_DEP_3) | instskip(NEXT) | instid1(VALU_DEP_1)
	v_lshrrev_b32_e32 v3, 6, v3
	v_cmp_lt_u32_e32 vcc_lo, v8, v3
	s_wait_alu 0xf1ff
	v_cndmask_b32_e64 v8, 0, 4, s3
	v_cmp_lt_u32_e64 s3, v9, v3
	s_wait_alu 0xfffd
	v_cndmask_b32_e32 v6, v4, v6, vcc_lo
	s_delay_alu instid0(VALU_DEP_3) | instskip(SKIP_4) | instid1(VALU_DEP_1)
	v_add_lshl_u32 v2, v8, v2, 2
	ds_bpermute_b32 v7, v7, v6
	s_wait_dscnt 0x0
	v_add_f32_e32 v7, v6, v7
	s_wait_alu 0xf1ff
	v_cndmask_b32_e64 v6, v6, v7, s3
	ds_bpermute_b32 v2, v2, v6
	v_add_nc_u32_e32 v7, 4, v5
	s_wait_dscnt 0x0
	v_dual_add_f32 v2, v6, v2 :: v_dual_add_nc_u32 v5, 8, v5
	s_delay_alu instid0(VALU_DEP_2) | instskip(SKIP_1) | instid1(VALU_DEP_1)
	v_cmp_lt_u32_e64 s3, v7, v3
	s_wait_alu 0xf1ff
	v_cndmask_b32_e64 v2, v6, v2, s3
	s_delay_alu instid0(VALU_DEP_3) | instskip(SKIP_4) | instid1(VALU_DEP_1)
	v_cmp_lt_u32_e64 s3, v5, v3
	ds_bpermute_b32 v1, v1, v2
	s_wait_dscnt 0x0
	v_add_f32_e32 v1, v2, v1
	s_wait_alu 0xf1ff
	v_cndmask_b32_e64 v1, v2, v1, s3
	s_delay_alu instid0(VALU_DEP_1)
	v_cndmask_b32_e32 v4, v4, v1, vcc_lo
.LBB9_10:
	s_wait_alu 0xfffe
	s_or_b32 exec_lo, exec_lo, s4
	s_delay_alu instid0(SALU_CYCLE_1)
	s_mov_b32 s3, exec_lo
	v_cmpx_eq_u32_e32 0, v0
	s_cbranch_execz .LBB9_12
; %bb.11:
	s_cvt_f32_i32 s4, s7
	s_load_b32 s0, s[0:1], 0x30
	s_delay_alu instid0(SALU_CYCLE_2) | instskip(SKIP_1) | instid1(VALU_DEP_2)
	v_div_scale_f32 v0, null, s4, s4, v4
	v_div_scale_f32 v3, vcc_lo, v4, s4, v4
	v_rcp_f32_e32 v1, v0
	s_delay_alu instid0(TRANS32_DEP_1) | instskip(NEXT) | instid1(VALU_DEP_1)
	v_fma_f32 v2, -v0, v1, 1.0
	v_fmac_f32_e32 v1, v2, v1
	s_delay_alu instid0(VALU_DEP_1) | instskip(NEXT) | instid1(VALU_DEP_1)
	v_mul_f32_e32 v2, v3, v1
	v_fma_f32 v5, -v0, v2, v3
	s_delay_alu instid0(VALU_DEP_1) | instskip(NEXT) | instid1(VALU_DEP_1)
	v_fmac_f32_e32 v2, v5, v1
	v_fma_f32 v0, -v0, v2, v3
	s_wait_alu 0xfffd
	s_delay_alu instid0(VALU_DEP_1) | instskip(NEXT) | instid1(VALU_DEP_1)
	v_div_fmas_f32 v0, v0, v1, v2
	v_div_fixup_f32 v0, v0, s4, v4
	s_wait_kmcnt 0x0
	s_delay_alu instid0(VALU_DEP_1) | instskip(NEXT) | instid1(VALU_DEP_1)
	v_add_f32_e32 v0, s0, v0
	v_mul_f32_e32 v1, 0x4b800000, v0
	v_cmp_gt_f32_e32 vcc_lo, 0x800000, v0
	s_wait_alu 0xfffd
	s_delay_alu instid0(VALU_DEP_2) | instskip(NEXT) | instid1(VALU_DEP_1)
	v_cndmask_b32_e32 v0, v0, v1, vcc_lo
	v_rsq_f32_e32 v0, v0
	s_delay_alu instid0(TRANS32_DEP_1) | instskip(NEXT) | instid1(VALU_DEP_1)
	v_mul_f32_e32 v1, 0x45800000, v0
	v_dual_cndmask_b32 v0, v0, v1 :: v_dual_mov_b32 v1, 0
	ds_store_b32 v1, v0 offset:64
.LBB9_12:
	s_wait_alu 0xfffe
	s_or_b32 exec_lo, exec_lo, s3
	s_wait_loadcnt_dscnt 0x0
	s_barrier_signal -1
	s_barrier_wait -1
	global_inv scope:SCOPE_SE
	s_and_saveexec_b32 s0, s2
	s_cbranch_execnz .LBB9_14
; %bb.13:
	s_endpgm
.LBB9_14:
	s_trap 2
	; divergent unreachable
	s_endpgm
	.section	.rodata,"a",@progbits
	.p2align	6, 0x0
	.amdhsa_kernel _ZN4vllm42fused_add_rms_norm_static_fp8_quant_kernelIN3c104HalfELi8ENS1_15Float8_e4m3fnuzEEENSt9enable_ifIXaagtT0_Li0Esr12_typeConvertIT_EE6existsEvE4typeEPT1_PS5_iSA_PKS5_PKffii
		.amdhsa_group_segment_fixed_size 68
		.amdhsa_private_segment_fixed_size 0
		.amdhsa_kernarg_size 320
		.amdhsa_user_sgpr_count 2
		.amdhsa_user_sgpr_dispatch_ptr 0
		.amdhsa_user_sgpr_queue_ptr 0
		.amdhsa_user_sgpr_kernarg_segment_ptr 1
		.amdhsa_user_sgpr_dispatch_id 0
		.amdhsa_user_sgpr_private_segment_size 0
		.amdhsa_wavefront_size32 1
		.amdhsa_uses_dynamic_stack 0
		.amdhsa_enable_private_segment 0
		.amdhsa_system_sgpr_workgroup_id_x 1
		.amdhsa_system_sgpr_workgroup_id_y 0
		.amdhsa_system_sgpr_workgroup_id_z 0
		.amdhsa_system_sgpr_workgroup_info 0
		.amdhsa_system_vgpr_workitem_id 0
		.amdhsa_next_free_vgpr 13
		.amdhsa_next_free_sgpr 14
		.amdhsa_reserve_vcc 1
		.amdhsa_float_round_mode_32 0
		.amdhsa_float_round_mode_16_64 0
		.amdhsa_float_denorm_mode_32 3
		.amdhsa_float_denorm_mode_16_64 3
		.amdhsa_fp16_overflow 0
		.amdhsa_workgroup_processor_mode 1
		.amdhsa_memory_ordered 1
		.amdhsa_forward_progress 1
		.amdhsa_inst_pref_size 12
		.amdhsa_round_robin_scheduling 0
		.amdhsa_exception_fp_ieee_invalid_op 0
		.amdhsa_exception_fp_denorm_src 0
		.amdhsa_exception_fp_ieee_div_zero 0
		.amdhsa_exception_fp_ieee_overflow 0
		.amdhsa_exception_fp_ieee_underflow 0
		.amdhsa_exception_fp_ieee_inexact 0
		.amdhsa_exception_int_div_zero 0
	.end_amdhsa_kernel
	.section	.text._ZN4vllm42fused_add_rms_norm_static_fp8_quant_kernelIN3c104HalfELi8ENS1_15Float8_e4m3fnuzEEENSt9enable_ifIXaagtT0_Li0Esr12_typeConvertIT_EE6existsEvE4typeEPT1_PS5_iSA_PKS5_PKffii,"axG",@progbits,_ZN4vllm42fused_add_rms_norm_static_fp8_quant_kernelIN3c104HalfELi8ENS1_15Float8_e4m3fnuzEEENSt9enable_ifIXaagtT0_Li0Esr12_typeConvertIT_EE6existsEvE4typeEPT1_PS5_iSA_PKS5_PKffii,comdat
.Lfunc_end9:
	.size	_ZN4vllm42fused_add_rms_norm_static_fp8_quant_kernelIN3c104HalfELi8ENS1_15Float8_e4m3fnuzEEENSt9enable_ifIXaagtT0_Li0Esr12_typeConvertIT_EE6existsEvE4typeEPT1_PS5_iSA_PKS5_PKffii, .Lfunc_end9-_ZN4vllm42fused_add_rms_norm_static_fp8_quant_kernelIN3c104HalfELi8ENS1_15Float8_e4m3fnuzEEENSt9enable_ifIXaagtT0_Li0Esr12_typeConvertIT_EE6existsEvE4typeEPT1_PS5_iSA_PKS5_PKffii
                                        ; -- End function
	.set _ZN4vllm42fused_add_rms_norm_static_fp8_quant_kernelIN3c104HalfELi8ENS1_15Float8_e4m3fnuzEEENSt9enable_ifIXaagtT0_Li0Esr12_typeConvertIT_EE6existsEvE4typeEPT1_PS5_iSA_PKS5_PKffii.num_vgpr, 13
	.set _ZN4vllm42fused_add_rms_norm_static_fp8_quant_kernelIN3c104HalfELi8ENS1_15Float8_e4m3fnuzEEENSt9enable_ifIXaagtT0_Li0Esr12_typeConvertIT_EE6existsEvE4typeEPT1_PS5_iSA_PKS5_PKffii.num_agpr, 0
	.set _ZN4vllm42fused_add_rms_norm_static_fp8_quant_kernelIN3c104HalfELi8ENS1_15Float8_e4m3fnuzEEENSt9enable_ifIXaagtT0_Li0Esr12_typeConvertIT_EE6existsEvE4typeEPT1_PS5_iSA_PKS5_PKffii.numbered_sgpr, 14
	.set _ZN4vllm42fused_add_rms_norm_static_fp8_quant_kernelIN3c104HalfELi8ENS1_15Float8_e4m3fnuzEEENSt9enable_ifIXaagtT0_Li0Esr12_typeConvertIT_EE6existsEvE4typeEPT1_PS5_iSA_PKS5_PKffii.num_named_barrier, 0
	.set _ZN4vllm42fused_add_rms_norm_static_fp8_quant_kernelIN3c104HalfELi8ENS1_15Float8_e4m3fnuzEEENSt9enable_ifIXaagtT0_Li0Esr12_typeConvertIT_EE6existsEvE4typeEPT1_PS5_iSA_PKS5_PKffii.private_seg_size, 0
	.set _ZN4vllm42fused_add_rms_norm_static_fp8_quant_kernelIN3c104HalfELi8ENS1_15Float8_e4m3fnuzEEENSt9enable_ifIXaagtT0_Li0Esr12_typeConvertIT_EE6existsEvE4typeEPT1_PS5_iSA_PKS5_PKffii.uses_vcc, 1
	.set _ZN4vllm42fused_add_rms_norm_static_fp8_quant_kernelIN3c104HalfELi8ENS1_15Float8_e4m3fnuzEEENSt9enable_ifIXaagtT0_Li0Esr12_typeConvertIT_EE6existsEvE4typeEPT1_PS5_iSA_PKS5_PKffii.uses_flat_scratch, 0
	.set _ZN4vllm42fused_add_rms_norm_static_fp8_quant_kernelIN3c104HalfELi8ENS1_15Float8_e4m3fnuzEEENSt9enable_ifIXaagtT0_Li0Esr12_typeConvertIT_EE6existsEvE4typeEPT1_PS5_iSA_PKS5_PKffii.has_dyn_sized_stack, 0
	.set _ZN4vllm42fused_add_rms_norm_static_fp8_quant_kernelIN3c104HalfELi8ENS1_15Float8_e4m3fnuzEEENSt9enable_ifIXaagtT0_Li0Esr12_typeConvertIT_EE6existsEvE4typeEPT1_PS5_iSA_PKS5_PKffii.has_recursion, 0
	.set _ZN4vllm42fused_add_rms_norm_static_fp8_quant_kernelIN3c104HalfELi8ENS1_15Float8_e4m3fnuzEEENSt9enable_ifIXaagtT0_Li0Esr12_typeConvertIT_EE6existsEvE4typeEPT1_PS5_iSA_PKS5_PKffii.has_indirect_call, 0
	.section	.AMDGPU.csdata,"",@progbits
; Kernel info:
; codeLenInByte = 1484
; TotalNumSgprs: 16
; NumVgprs: 13
; ScratchSize: 0
; MemoryBound: 0
; FloatMode: 240
; IeeeMode: 1
; LDSByteSize: 68 bytes/workgroup (compile time only)
; SGPRBlocks: 0
; VGPRBlocks: 1
; NumSGPRsForWavesPerEU: 16
; NumVGPRsForWavesPerEU: 13
; Occupancy: 16
; WaveLimiterHint : 0
; COMPUTE_PGM_RSRC2:SCRATCH_EN: 0
; COMPUTE_PGM_RSRC2:USER_SGPR: 2
; COMPUTE_PGM_RSRC2:TRAP_HANDLER: 0
; COMPUTE_PGM_RSRC2:TGID_X_EN: 1
; COMPUTE_PGM_RSRC2:TGID_Y_EN: 0
; COMPUTE_PGM_RSRC2:TGID_Z_EN: 0
; COMPUTE_PGM_RSRC2:TIDIG_COMP_CNT: 0
	.section	.text._ZN4vllm42fused_add_rms_norm_static_fp8_quant_kernelIN3c108BFloat16ELi8ENS1_13Float8_e4m3fnEEENSt9enable_ifIXooeqT0_Li0Entsr12_typeConvertIT_EE6existsEvE4typeEPT1_PS5_iSA_PKS5_PKffii,"axG",@progbits,_ZN4vllm42fused_add_rms_norm_static_fp8_quant_kernelIN3c108BFloat16ELi8ENS1_13Float8_e4m3fnEEENSt9enable_ifIXooeqT0_Li0Entsr12_typeConvertIT_EE6existsEvE4typeEPT1_PS5_iSA_PKS5_PKffii,comdat
	.protected	_ZN4vllm42fused_add_rms_norm_static_fp8_quant_kernelIN3c108BFloat16ELi8ENS1_13Float8_e4m3fnEEENSt9enable_ifIXooeqT0_Li0Entsr12_typeConvertIT_EE6existsEvE4typeEPT1_PS5_iSA_PKS5_PKffii ; -- Begin function _ZN4vllm42fused_add_rms_norm_static_fp8_quant_kernelIN3c108BFloat16ELi8ENS1_13Float8_e4m3fnEEENSt9enable_ifIXooeqT0_Li0Entsr12_typeConvertIT_EE6existsEvE4typeEPT1_PS5_iSA_PKS5_PKffii
	.globl	_ZN4vllm42fused_add_rms_norm_static_fp8_quant_kernelIN3c108BFloat16ELi8ENS1_13Float8_e4m3fnEEENSt9enable_ifIXooeqT0_Li0Entsr12_typeConvertIT_EE6existsEvE4typeEPT1_PS5_iSA_PKS5_PKffii
	.p2align	8
	.type	_ZN4vllm42fused_add_rms_norm_static_fp8_quant_kernelIN3c108BFloat16ELi8ENS1_13Float8_e4m3fnEEENSt9enable_ifIXooeqT0_Li0Entsr12_typeConvertIT_EE6existsEvE4typeEPT1_PS5_iSA_PKS5_PKffii,@function
_ZN4vllm42fused_add_rms_norm_static_fp8_quant_kernelIN3c108BFloat16ELi8ENS1_13Float8_e4m3fnEEENSt9enable_ifIXooeqT0_Li0Entsr12_typeConvertIT_EE6existsEvE4typeEPT1_PS5_iSA_PKS5_PKffii: ; @_ZN4vllm42fused_add_rms_norm_static_fp8_quant_kernelIN3c108BFloat16ELi8ENS1_13Float8_e4m3fnEEENSt9enable_ifIXooeqT0_Li0Entsr12_typeConvertIT_EE6existsEvE4typeEPT1_PS5_iSA_PKS5_PKffii
; %bb.0:
	s_clause 0x1
	s_load_b32 s11, s[0:1], 0x38
	s_load_b64 s[12:13], s[0:1], 0x18
	s_mov_b32 s3, exec_lo
                                        ; implicit-def: $sgpr8
                                        ; implicit-def: $sgpr9
	s_wait_kmcnt 0x0
	v_cmp_gt_i32_e64 s2, s11, v0
	v_cmpx_le_i32_e64 s11, v0
	s_xor_b32 s3, exec_lo, s3
	s_cbranch_execz .LBB10_2
; %bb.1:
	s_load_b32 s4, s[0:1], 0x4c
	s_mov_b32 s8, ttmp9
	s_wait_kmcnt 0x0
	s_and_b32 s9, s4, 0xffff
.LBB10_2:
	s_or_saveexec_b32 s3, s3
	s_clause 0x1
	s_load_b64 s[14:15], s[0:1], 0x0
	s_load_b128 s[4:7], s[0:1], 0x20
	v_dual_mov_b32 v3, 0 :: v_dual_mov_b32 v4, s9
	v_mov_b32_e32 v1, s8
	s_xor_b32 exec_lo, exec_lo, s3
	s_cbranch_execz .LBB10_6
; %bb.3:
	s_clause 0x1
	s_load_b96 s[8:10], s[0:1], 0x8
	s_load_b32 s18, s[0:1], 0x4c
	v_dual_mov_b32 v2, 0 :: v_dual_mov_b32 v3, 0
	v_mov_b32_e32 v4, v0
	s_mul_i32 s16, s11, ttmp9
	s_wait_kmcnt 0x0
	s_mul_i32 s17, s10, ttmp9
	s_and_b32 s10, s18, 0xffff
	s_mov_b32 s18, 0
.LBB10_4:                               ; =>This Inner Loop Header: Depth=1
	v_add_nc_u32_e32 v1, s17, v4
	s_delay_alu instid0(VALU_DEP_1) | instskip(SKIP_3) | instid1(VALU_DEP_2)
	v_lshlrev_b64_e32 v[5:6], 1, v[1:2]
	v_add_nc_u32_e32 v1, s16, v4
	s_wait_alu 0xfffe
	v_add_nc_u32_e32 v4, s10, v4
	v_lshlrev_b64_e32 v[7:8], 1, v[1:2]
	s_delay_alu instid0(VALU_DEP_4) | instskip(SKIP_2) | instid1(VALU_DEP_3)
	v_add_co_u32 v5, vcc_lo, s8, v5
	s_wait_alu 0xfffd
	v_add_co_ci_u32_e64 v6, null, s9, v6, vcc_lo
	v_add_co_u32 v7, vcc_lo, s12, v7
	s_wait_alu 0xfffd
	v_add_co_ci_u32_e64 v8, null, s13, v8, vcc_lo
	global_load_u16 v1, v[5:6], off
	global_load_u16 v5, v[7:8], off
	s_wait_loadcnt 0x1
	v_lshlrev_b32_e32 v1, 16, v1
	s_wait_loadcnt 0x0
	v_lshlrev_b32_e32 v5, 16, v5
	s_delay_alu instid0(VALU_DEP_1) | instskip(NEXT) | instid1(VALU_DEP_1)
	v_add_f32_e32 v1, v1, v5
	v_bfe_u32 v5, v1, 16, 1
	v_cmp_o_f32_e32 vcc_lo, v1, v1
	s_delay_alu instid0(VALU_DEP_2) | instskip(NEXT) | instid1(VALU_DEP_1)
	v_add3_u32 v5, v1, v5, 0x7fff
	v_lshrrev_b32_e32 v5, 16, v5
	s_wait_alu 0xfffd
	s_delay_alu instid0(VALU_DEP_1) | instskip(SKIP_1) | instid1(VALU_DEP_2)
	v_cndmask_b32_e32 v1, 0x7fc0, v5, vcc_lo
	v_cmp_le_i32_e32 vcc_lo, s11, v4
	v_lshlrev_b32_e32 v5, 16, v1
	s_or_b32 s18, vcc_lo, s18
	global_store_b16 v[7:8], v1, off
	v_fmac_f32_e32 v3, v5, v5
	s_and_not1_b32 exec_lo, exec_lo, s18
	s_cbranch_execnz .LBB10_4
; %bb.5:
	s_or_b32 exec_lo, exec_lo, s18
	v_dual_mov_b32 v1, ttmp9 :: v_dual_mov_b32 v4, s10
.LBB10_6:
	s_or_b32 exec_lo, exec_lo, s3
	v_mbcnt_lo_u32_b32 v2, -1, 0
	s_mov_b32 s3, exec_lo
	s_delay_alu instid0(VALU_DEP_1) | instskip(SKIP_3) | instid1(VALU_DEP_2)
	v_cmp_ne_u32_e32 vcc_lo, 63, v2
	s_wait_alu 0xfffd
	v_add_co_ci_u32_e64 v5, null, 0, v2, vcc_lo
	v_cmp_gt_u32_e32 vcc_lo, 62, v2
	v_lshlrev_b32_e32 v5, 2, v5
	s_wait_alu 0xfffd
	v_cndmask_b32_e64 v7, 0, 2, vcc_lo
	ds_bpermute_b32 v5, v5, v3
	v_and_b32_e32 v6, 0x3c0, v0
	v_add_lshl_u32 v7, v7, v2, 2
	s_wait_dscnt 0x0
	v_add_f32_e32 v5, v3, v5
	s_delay_alu instid0(VALU_DEP_3) | instskip(SKIP_1) | instid1(VALU_DEP_1)
	v_sub_nc_u32_e64 v6, v4, v6 clamp
	v_add_nc_u32_e32 v8, 1, v2
	v_cmp_lt_u32_e32 vcc_lo, v8, v6
	s_wait_alu 0xfffd
	v_cndmask_b32_e32 v3, v3, v5, vcc_lo
	v_cmp_gt_u32_e32 vcc_lo, 60, v2
	ds_bpermute_b32 v5, v7, v3
	v_add_nc_u32_e32 v8, 2, v2
	s_wait_alu 0xfffd
	v_cndmask_b32_e64 v7, 0, 4, vcc_lo
	s_delay_alu instid0(VALU_DEP_1) | instskip(SKIP_4) | instid1(VALU_DEP_2)
	v_add_lshl_u32 v7, v7, v2, 2
	s_wait_dscnt 0x0
	v_add_f32_e32 v5, v3, v5
	v_cmp_lt_u32_e32 vcc_lo, v8, v6
	s_wait_alu 0xfffd
	v_dual_cndmask_b32 v3, v3, v5 :: v_dual_add_nc_u32 v8, 4, v2
	v_cmp_gt_u32_e32 vcc_lo, 56, v2
	ds_bpermute_b32 v5, v7, v3
	s_wait_alu 0xfffd
	v_cndmask_b32_e64 v7, 0, 8, vcc_lo
	v_cmp_lt_u32_e32 vcc_lo, v8, v6
	v_add_nc_u32_e32 v8, 8, v2
	s_delay_alu instid0(VALU_DEP_3) | instskip(SKIP_3) | instid1(VALU_DEP_1)
	v_add_lshl_u32 v7, v7, v2, 2
	s_wait_dscnt 0x0
	v_add_f32_e32 v5, v3, v5
	s_wait_alu 0xfffd
	v_cndmask_b32_e32 v3, v3, v5, vcc_lo
	v_cmp_gt_u32_e32 vcc_lo, 48, v2
	ds_bpermute_b32 v5, v7, v3
	s_wait_alu 0xfffd
	v_cndmask_b32_e64 v7, 0, 16, vcc_lo
	v_cmp_lt_u32_e32 vcc_lo, v8, v6
	s_delay_alu instid0(VALU_DEP_2) | instskip(SKIP_3) | instid1(VALU_DEP_1)
	v_add_lshl_u32 v7, v7, v2, 2
	s_wait_dscnt 0x0
	v_add_f32_e32 v5, v3, v5
	s_wait_alu 0xfffd
	v_cndmask_b32_e32 v5, v3, v5, vcc_lo
	ds_bpermute_b32 v3, v7, v5
	s_wait_dscnt 0x0
	v_dual_add_f32 v8, v5, v3 :: v_dual_add_nc_u32 v7, 16, v2
	s_delay_alu instid0(VALU_DEP_1) | instskip(SKIP_2) | instid1(VALU_DEP_3)
	v_cmp_lt_u32_e32 vcc_lo, v7, v6
	v_lshlrev_b32_e32 v3, 2, v2
	s_wait_alu 0xfffd
	v_cndmask_b32_e32 v5, v5, v8, vcc_lo
	v_or_b32_e32 v8, 32, v2
	ds_bpermute_b32 v7, v3, v5 offset:128
	v_cmp_lt_u32_e32 vcc_lo, v8, v6
	s_wait_dscnt 0x0
	v_add_f32_e32 v7, v5, v7
	s_wait_alu 0xfffd
	s_delay_alu instid0(VALU_DEP_1)
	v_cndmask_b32_e32 v5, v5, v7, vcc_lo
	v_cmpx_eq_u32_e32 0, v2
; %bb.7:
	v_lshrrev_b32_e32 v6, 4, v0
	s_delay_alu instid0(VALU_DEP_1)
	v_and_b32_e32 v6, 60, v6
	ds_store_b32 v6, v5
; %bb.8:
	s_or_b32 exec_lo, exec_lo, s3
	s_delay_alu instid0(SALU_CYCLE_1)
	s_mov_b32 s8, exec_lo
	s_wait_storecnt_dscnt 0x0
	s_barrier_signal -1
	s_barrier_wait -1
	global_inv scope:SCOPE_SE
	v_cmpx_gt_u32_e32 16, v0
	s_cbranch_execz .LBB10_10
; %bb.9:
	ds_load_b32 v5, v3
	v_and_b32_e32 v6, 15, v2
	v_or_b32_e32 v3, 32, v3
	s_delay_alu instid0(VALU_DEP_2) | instskip(SKIP_2) | instid1(VALU_DEP_1)
	v_cmp_ne_u32_e32 vcc_lo, 15, v6
	s_wait_alu 0xfffd
	v_add_co_ci_u32_e64 v7, null, 0, v2, vcc_lo
	v_lshlrev_b32_e32 v7, 2, v7
	s_wait_dscnt 0x0
	ds_bpermute_b32 v7, v7, v5
	s_wait_dscnt 0x0
	v_dual_add_f32 v7, v5, v7 :: v_dual_add_nc_u32 v8, 63, v4
	v_cmp_gt_u32_e32 vcc_lo, 14, v6
	v_add_nc_u32_e32 v10, 1, v6
	v_cmp_gt_u32_e64 s3, 12, v6
	v_add_nc_u32_e32 v11, 2, v6
	v_lshrrev_b32_e32 v8, 6, v8
	s_wait_alu 0xfffd
	v_cndmask_b32_e64 v9, 0, 2, vcc_lo
	s_delay_alu instid0(VALU_DEP_2) | instskip(NEXT) | instid1(VALU_DEP_2)
	v_cmp_lt_u32_e32 vcc_lo, v10, v8
	v_add_lshl_u32 v9, v9, v2, 2
	v_cndmask_b32_e64 v10, 0, 4, s3
	v_cmp_lt_u32_e64 s3, v11, v8
	s_wait_alu 0xfffd
	v_cndmask_b32_e32 v7, v5, v7, vcc_lo
	s_delay_alu instid0(VALU_DEP_3) | instskip(SKIP_4) | instid1(VALU_DEP_1)
	v_add_lshl_u32 v2, v10, v2, 2
	ds_bpermute_b32 v9, v9, v7
	s_wait_dscnt 0x0
	v_add_f32_e32 v9, v7, v9
	s_wait_alu 0xf1ff
	v_cndmask_b32_e64 v7, v7, v9, s3
	v_add_nc_u32_e32 v9, 4, v6
	ds_bpermute_b32 v2, v2, v7
	v_cmp_lt_u32_e64 s3, v9, v8
	s_wait_dscnt 0x0
	v_add_f32_e32 v2, v7, v2
	s_wait_alu 0xf1ff
	s_delay_alu instid0(VALU_DEP_1) | instskip(SKIP_3) | instid1(VALU_DEP_1)
	v_cndmask_b32_e64 v2, v7, v2, s3
	ds_bpermute_b32 v3, v3, v2
	s_wait_dscnt 0x0
	v_dual_add_f32 v3, v2, v3 :: v_dual_add_nc_u32 v6, 8, v6
	v_cmp_lt_u32_e64 s3, v6, v8
	s_wait_alu 0xf1ff
	s_delay_alu instid0(VALU_DEP_1) | instskip(NEXT) | instid1(VALU_DEP_1)
	v_cndmask_b32_e64 v2, v2, v3, s3
	v_cndmask_b32_e32 v5, v5, v2, vcc_lo
.LBB10_10:
	s_wait_alu 0xfffe
	s_or_b32 exec_lo, exec_lo, s8
	s_delay_alu instid0(SALU_CYCLE_1)
	s_mov_b32 s3, exec_lo
	v_cmpx_eq_u32_e32 0, v0
	s_cbranch_execz .LBB10_12
; %bb.11:
	s_cvt_f32_i32 s8, s11
	s_load_b32 s0, s[0:1], 0x30
	s_delay_alu instid0(SALU_CYCLE_2) | instskip(SKIP_1) | instid1(VALU_DEP_2)
	v_div_scale_f32 v2, null, s8, s8, v5
	v_div_scale_f32 v7, vcc_lo, v5, s8, v5
	v_rcp_f32_e32 v3, v2
	s_delay_alu instid0(TRANS32_DEP_1) | instskip(NEXT) | instid1(VALU_DEP_1)
	v_fma_f32 v6, -v2, v3, 1.0
	v_fmac_f32_e32 v3, v6, v3
	s_delay_alu instid0(VALU_DEP_1) | instskip(NEXT) | instid1(VALU_DEP_1)
	v_mul_f32_e32 v6, v7, v3
	v_fma_f32 v8, -v2, v6, v7
	s_delay_alu instid0(VALU_DEP_1) | instskip(NEXT) | instid1(VALU_DEP_1)
	v_fmac_f32_e32 v6, v8, v3
	v_fma_f32 v2, -v2, v6, v7
	s_wait_alu 0xfffd
	s_delay_alu instid0(VALU_DEP_1) | instskip(NEXT) | instid1(VALU_DEP_1)
	v_div_fmas_f32 v2, v2, v3, v6
	v_div_fixup_f32 v2, v2, s8, v5
	s_wait_kmcnt 0x0
	s_delay_alu instid0(VALU_DEP_1) | instskip(NEXT) | instid1(VALU_DEP_1)
	v_add_f32_e32 v2, s0, v2
	v_mul_f32_e32 v3, 0x4b800000, v2
	v_cmp_gt_f32_e32 vcc_lo, 0x800000, v2
	s_wait_alu 0xfffd
	s_delay_alu instid0(VALU_DEP_2) | instskip(NEXT) | instid1(VALU_DEP_1)
	v_cndmask_b32_e32 v2, v2, v3, vcc_lo
	v_rsq_f32_e32 v2, v2
	s_delay_alu instid0(TRANS32_DEP_1) | instskip(NEXT) | instid1(VALU_DEP_1)
	v_mul_f32_e32 v3, 0x45800000, v2
	v_dual_cndmask_b32 v2, v2, v3 :: v_dual_mov_b32 v3, 0
	ds_store_b32 v3, v2 offset:64
.LBB10_12:
	s_wait_alu 0xfffe
	s_or_b32 exec_lo, exec_lo, s3
	s_wait_loadcnt_dscnt 0x0
	s_barrier_signal -1
	s_barrier_wait -1
	global_inv scope:SCOPE_SE
	s_and_saveexec_b32 s0, s2
	s_cbranch_execz .LBB10_15
; %bb.13:
	s_wait_kmcnt 0x0
	s_load_b32 s0, s[6:7], 0x0
	s_mov_b32 s1, 0x43e00000
	s_wait_kmcnt 0x0
	v_div_scale_f32 v2, null, s0, s0, 1.0
	v_div_scale_f32 v7, vcc_lo, 1.0, s0, 1.0
	s_delay_alu instid0(VALU_DEP_2)
	v_rcp_f32_e32 v6, v2
	v_xor_b32_e32 v2, 0x80000000, v2
	s_delay_alu instid0(TRANS32_DEP_1) | instid1(VALU_DEP_1)
	v_fma_f32 v3, v2, v6, 1.0
	s_delay_alu instid0(VALU_DEP_1) | instskip(NEXT) | instid1(VALU_DEP_1)
	v_dual_fmac_f32 v6, v3, v6 :: v_dual_mov_b32 v3, 0
	v_mul_f32_e32 v8, v7, v6
	s_delay_alu instid0(VALU_DEP_1) | instskip(NEXT) | instid1(VALU_DEP_1)
	v_fma_f32 v5, v2, v8, v7
	v_fmac_f32_e32 v8, v5, v6
	ds_load_b32 v5, v3 offset:64
	v_fmac_f32_e32 v7, v2, v8
	s_wait_alu 0xfffd
	s_delay_alu instid0(VALU_DEP_1) | instskip(SKIP_1) | instid1(VALU_DEP_2)
	v_div_fmas_f32 v2, v7, v6, v8
	v_mul_lo_u32 v6, s11, v1
	v_div_fixup_f32 v7, v2, s0, 1.0
	s_mov_b32 s0, 0
.LBB10_14:                              ; =>This Inner Loop Header: Depth=1
	s_delay_alu instid0(VALU_DEP_2) | instskip(SKIP_1) | instid1(VALU_DEP_2)
	v_add_nc_u32_e32 v2, v6, v0
	v_ashrrev_i32_e32 v1, 31, v0
	v_lshlrev_b64_e32 v[8:9], 1, v[2:3]
	s_delay_alu instid0(VALU_DEP_1) | instskip(SKIP_1) | instid1(VALU_DEP_2)
	v_add_co_u32 v8, vcc_lo, s12, v8
	s_wait_alu 0xfffd
	v_add_co_ci_u32_e64 v9, null, s13, v9, vcc_lo
	global_load_u16 v10, v[8:9], off
	v_lshlrev_b64_e32 v[8:9], 1, v[0:1]
	v_add_nc_u32_e32 v0, v0, v4
	s_delay_alu instid0(VALU_DEP_2) | instskip(SKIP_1) | instid1(VALU_DEP_3)
	v_add_co_u32 v8, vcc_lo, s4, v8
	s_wait_alu 0xfffd
	v_add_co_ci_u32_e64 v9, null, s5, v9, vcc_lo
	global_load_u16 v1, v[8:9], off
	s_wait_loadcnt 0x1
	v_lshlrev_b32_e32 v8, 16, v10
	s_wait_dscnt 0x0
	s_delay_alu instid0(VALU_DEP_1) | instskip(NEXT) | instid1(VALU_DEP_1)
	v_mul_f32_e32 v8, v5, v8
	v_bfe_u32 v9, v8, 16, 1
	s_wait_loadcnt 0x0
	v_lshlrev_b32_e32 v1, 16, v1
	s_delay_alu instid0(VALU_DEP_2) | instskip(NEXT) | instid1(VALU_DEP_1)
	v_add3_u32 v9, v8, v9, 0x7fff
	v_and_b32_e32 v9, 0xffff0000, v9
	v_cmp_o_f32_e32 vcc_lo, v8, v8
	s_wait_alu 0xfffd
	s_delay_alu instid0(VALU_DEP_2) | instskip(NEXT) | instid1(VALU_DEP_1)
	v_dual_cndmask_b32 v8, 0x7fc00000, v9 :: v_dual_mov_b32 v9, v3
	v_mul_f32_e32 v1, v8, v1
	s_delay_alu instid0(VALU_DEP_1) | instskip(SKIP_1) | instid1(VALU_DEP_2)
	v_bfe_u32 v8, v1, 16, 1
	v_cmp_o_f32_e32 vcc_lo, v1, v1
	v_add3_u32 v8, v1, v8, 0x7fff
	s_delay_alu instid0(VALU_DEP_1) | instskip(SKIP_1) | instid1(VALU_DEP_1)
	v_and_b32_e32 v8, 0xffff0000, v8
	s_wait_alu 0xfffd
	v_cndmask_b32_e32 v1, 0x7fc00000, v8, vcc_lo
	s_delay_alu instid0(VALU_DEP_1) | instskip(SKIP_1) | instid1(VALU_DEP_1)
	v_mul_f32_e32 v1, v7, v1
	s_wait_alu 0xfffe
	v_minmax_num_f32 v1, v1, s1, 0xc3e00000
	s_delay_alu instid0(VALU_DEP_1) | instskip(SKIP_2) | instid1(VALU_DEP_2)
	v_med3_num_f32 v8, v1, s1, 0xc3e00000
	v_cmp_nlg_f32_e64 vcc_lo, 0x7f800000, |v1|
	s_wait_alu 0xfffd
	v_cndmask_b32_e32 v1, v8, v1, vcc_lo
	v_cmp_le_i32_e32 vcc_lo, s11, v0
	s_delay_alu instid0(VALU_DEP_2)
	v_cvt_pk_fp8_f32 v9, v1, v1
	s_or_b32 s0, vcc_lo, s0
	global_store_b8 v2, v9, s[14:15]
	s_wait_alu 0xfffe
	s_and_not1_b32 exec_lo, exec_lo, s0
	s_cbranch_execnz .LBB10_14
.LBB10_15:
	s_endpgm
	.section	.rodata,"a",@progbits
	.p2align	6, 0x0
	.amdhsa_kernel _ZN4vllm42fused_add_rms_norm_static_fp8_quant_kernelIN3c108BFloat16ELi8ENS1_13Float8_e4m3fnEEENSt9enable_ifIXooeqT0_Li0Entsr12_typeConvertIT_EE6existsEvE4typeEPT1_PS5_iSA_PKS5_PKffii
		.amdhsa_group_segment_fixed_size 68
		.amdhsa_private_segment_fixed_size 0
		.amdhsa_kernarg_size 320
		.amdhsa_user_sgpr_count 2
		.amdhsa_user_sgpr_dispatch_ptr 0
		.amdhsa_user_sgpr_queue_ptr 0
		.amdhsa_user_sgpr_kernarg_segment_ptr 1
		.amdhsa_user_sgpr_dispatch_id 0
		.amdhsa_user_sgpr_private_segment_size 0
		.amdhsa_wavefront_size32 1
		.amdhsa_uses_dynamic_stack 0
		.amdhsa_enable_private_segment 0
		.amdhsa_system_sgpr_workgroup_id_x 1
		.amdhsa_system_sgpr_workgroup_id_y 0
		.amdhsa_system_sgpr_workgroup_id_z 0
		.amdhsa_system_sgpr_workgroup_info 0
		.amdhsa_system_vgpr_workitem_id 0
		.amdhsa_next_free_vgpr 12
		.amdhsa_next_free_sgpr 19
		.amdhsa_reserve_vcc 1
		.amdhsa_float_round_mode_32 0
		.amdhsa_float_round_mode_16_64 0
		.amdhsa_float_denorm_mode_32 3
		.amdhsa_float_denorm_mode_16_64 3
		.amdhsa_fp16_overflow 0
		.amdhsa_workgroup_processor_mode 1
		.amdhsa_memory_ordered 1
		.amdhsa_forward_progress 1
		.amdhsa_inst_pref_size 15
		.amdhsa_round_robin_scheduling 0
		.amdhsa_exception_fp_ieee_invalid_op 0
		.amdhsa_exception_fp_denorm_src 0
		.amdhsa_exception_fp_ieee_div_zero 0
		.amdhsa_exception_fp_ieee_overflow 0
		.amdhsa_exception_fp_ieee_underflow 0
		.amdhsa_exception_fp_ieee_inexact 0
		.amdhsa_exception_int_div_zero 0
	.end_amdhsa_kernel
	.section	.text._ZN4vllm42fused_add_rms_norm_static_fp8_quant_kernelIN3c108BFloat16ELi8ENS1_13Float8_e4m3fnEEENSt9enable_ifIXooeqT0_Li0Entsr12_typeConvertIT_EE6existsEvE4typeEPT1_PS5_iSA_PKS5_PKffii,"axG",@progbits,_ZN4vllm42fused_add_rms_norm_static_fp8_quant_kernelIN3c108BFloat16ELi8ENS1_13Float8_e4m3fnEEENSt9enable_ifIXooeqT0_Li0Entsr12_typeConvertIT_EE6existsEvE4typeEPT1_PS5_iSA_PKS5_PKffii,comdat
.Lfunc_end10:
	.size	_ZN4vllm42fused_add_rms_norm_static_fp8_quant_kernelIN3c108BFloat16ELi8ENS1_13Float8_e4m3fnEEENSt9enable_ifIXooeqT0_Li0Entsr12_typeConvertIT_EE6existsEvE4typeEPT1_PS5_iSA_PKS5_PKffii, .Lfunc_end10-_ZN4vllm42fused_add_rms_norm_static_fp8_quant_kernelIN3c108BFloat16ELi8ENS1_13Float8_e4m3fnEEENSt9enable_ifIXooeqT0_Li0Entsr12_typeConvertIT_EE6existsEvE4typeEPT1_PS5_iSA_PKS5_PKffii
                                        ; -- End function
	.set _ZN4vllm42fused_add_rms_norm_static_fp8_quant_kernelIN3c108BFloat16ELi8ENS1_13Float8_e4m3fnEEENSt9enable_ifIXooeqT0_Li0Entsr12_typeConvertIT_EE6existsEvE4typeEPT1_PS5_iSA_PKS5_PKffii.num_vgpr, 12
	.set _ZN4vllm42fused_add_rms_norm_static_fp8_quant_kernelIN3c108BFloat16ELi8ENS1_13Float8_e4m3fnEEENSt9enable_ifIXooeqT0_Li0Entsr12_typeConvertIT_EE6existsEvE4typeEPT1_PS5_iSA_PKS5_PKffii.num_agpr, 0
	.set _ZN4vllm42fused_add_rms_norm_static_fp8_quant_kernelIN3c108BFloat16ELi8ENS1_13Float8_e4m3fnEEENSt9enable_ifIXooeqT0_Li0Entsr12_typeConvertIT_EE6existsEvE4typeEPT1_PS5_iSA_PKS5_PKffii.numbered_sgpr, 19
	.set _ZN4vllm42fused_add_rms_norm_static_fp8_quant_kernelIN3c108BFloat16ELi8ENS1_13Float8_e4m3fnEEENSt9enable_ifIXooeqT0_Li0Entsr12_typeConvertIT_EE6existsEvE4typeEPT1_PS5_iSA_PKS5_PKffii.num_named_barrier, 0
	.set _ZN4vllm42fused_add_rms_norm_static_fp8_quant_kernelIN3c108BFloat16ELi8ENS1_13Float8_e4m3fnEEENSt9enable_ifIXooeqT0_Li0Entsr12_typeConvertIT_EE6existsEvE4typeEPT1_PS5_iSA_PKS5_PKffii.private_seg_size, 0
	.set _ZN4vllm42fused_add_rms_norm_static_fp8_quant_kernelIN3c108BFloat16ELi8ENS1_13Float8_e4m3fnEEENSt9enable_ifIXooeqT0_Li0Entsr12_typeConvertIT_EE6existsEvE4typeEPT1_PS5_iSA_PKS5_PKffii.uses_vcc, 1
	.set _ZN4vllm42fused_add_rms_norm_static_fp8_quant_kernelIN3c108BFloat16ELi8ENS1_13Float8_e4m3fnEEENSt9enable_ifIXooeqT0_Li0Entsr12_typeConvertIT_EE6existsEvE4typeEPT1_PS5_iSA_PKS5_PKffii.uses_flat_scratch, 0
	.set _ZN4vllm42fused_add_rms_norm_static_fp8_quant_kernelIN3c108BFloat16ELi8ENS1_13Float8_e4m3fnEEENSt9enable_ifIXooeqT0_Li0Entsr12_typeConvertIT_EE6existsEvE4typeEPT1_PS5_iSA_PKS5_PKffii.has_dyn_sized_stack, 0
	.set _ZN4vllm42fused_add_rms_norm_static_fp8_quant_kernelIN3c108BFloat16ELi8ENS1_13Float8_e4m3fnEEENSt9enable_ifIXooeqT0_Li0Entsr12_typeConvertIT_EE6existsEvE4typeEPT1_PS5_iSA_PKS5_PKffii.has_recursion, 0
	.set _ZN4vllm42fused_add_rms_norm_static_fp8_quant_kernelIN3c108BFloat16ELi8ENS1_13Float8_e4m3fnEEENSt9enable_ifIXooeqT0_Li0Entsr12_typeConvertIT_EE6existsEvE4typeEPT1_PS5_iSA_PKS5_PKffii.has_indirect_call, 0
	.section	.AMDGPU.csdata,"",@progbits
; Kernel info:
; codeLenInByte = 1840
; TotalNumSgprs: 21
; NumVgprs: 12
; ScratchSize: 0
; MemoryBound: 0
; FloatMode: 240
; IeeeMode: 1
; LDSByteSize: 68 bytes/workgroup (compile time only)
; SGPRBlocks: 0
; VGPRBlocks: 1
; NumSGPRsForWavesPerEU: 21
; NumVGPRsForWavesPerEU: 12
; Occupancy: 16
; WaveLimiterHint : 0
; COMPUTE_PGM_RSRC2:SCRATCH_EN: 0
; COMPUTE_PGM_RSRC2:USER_SGPR: 2
; COMPUTE_PGM_RSRC2:TRAP_HANDLER: 0
; COMPUTE_PGM_RSRC2:TGID_X_EN: 1
; COMPUTE_PGM_RSRC2:TGID_Y_EN: 0
; COMPUTE_PGM_RSRC2:TGID_Z_EN: 0
; COMPUTE_PGM_RSRC2:TIDIG_COMP_CNT: 0
	.section	.text._ZN4vllm42fused_add_rms_norm_static_fp8_quant_kernelIN3c108BFloat16ELi8ENS1_15Float8_e4m3fnuzEEENSt9enable_ifIXooeqT0_Li0Entsr12_typeConvertIT_EE6existsEvE4typeEPT1_PS5_iSA_PKS5_PKffii,"axG",@progbits,_ZN4vllm42fused_add_rms_norm_static_fp8_quant_kernelIN3c108BFloat16ELi8ENS1_15Float8_e4m3fnuzEEENSt9enable_ifIXooeqT0_Li0Entsr12_typeConvertIT_EE6existsEvE4typeEPT1_PS5_iSA_PKS5_PKffii,comdat
	.protected	_ZN4vllm42fused_add_rms_norm_static_fp8_quant_kernelIN3c108BFloat16ELi8ENS1_15Float8_e4m3fnuzEEENSt9enable_ifIXooeqT0_Li0Entsr12_typeConvertIT_EE6existsEvE4typeEPT1_PS5_iSA_PKS5_PKffii ; -- Begin function _ZN4vllm42fused_add_rms_norm_static_fp8_quant_kernelIN3c108BFloat16ELi8ENS1_15Float8_e4m3fnuzEEENSt9enable_ifIXooeqT0_Li0Entsr12_typeConvertIT_EE6existsEvE4typeEPT1_PS5_iSA_PKS5_PKffii
	.globl	_ZN4vllm42fused_add_rms_norm_static_fp8_quant_kernelIN3c108BFloat16ELi8ENS1_15Float8_e4m3fnuzEEENSt9enable_ifIXooeqT0_Li0Entsr12_typeConvertIT_EE6existsEvE4typeEPT1_PS5_iSA_PKS5_PKffii
	.p2align	8
	.type	_ZN4vllm42fused_add_rms_norm_static_fp8_quant_kernelIN3c108BFloat16ELi8ENS1_15Float8_e4m3fnuzEEENSt9enable_ifIXooeqT0_Li0Entsr12_typeConvertIT_EE6existsEvE4typeEPT1_PS5_iSA_PKS5_PKffii,@function
_ZN4vllm42fused_add_rms_norm_static_fp8_quant_kernelIN3c108BFloat16ELi8ENS1_15Float8_e4m3fnuzEEENSt9enable_ifIXooeqT0_Li0Entsr12_typeConvertIT_EE6existsEvE4typeEPT1_PS5_iSA_PKS5_PKffii: ; @_ZN4vllm42fused_add_rms_norm_static_fp8_quant_kernelIN3c108BFloat16ELi8ENS1_15Float8_e4m3fnuzEEENSt9enable_ifIXooeqT0_Li0Entsr12_typeConvertIT_EE6existsEvE4typeEPT1_PS5_iSA_PKS5_PKffii
; %bb.0:
	s_load_b32 s7, s[0:1], 0x38
	s_mov_b32 s3, exec_lo
                                        ; implicit-def: $sgpr4
	s_wait_kmcnt 0x0
	v_cmp_gt_i32_e64 s2, s7, v0
	v_cmpx_le_i32_e64 s7, v0
	s_xor_b32 s3, exec_lo, s3
	s_cbranch_execz .LBB11_2
; %bb.1:
	s_load_b32 s4, s[0:1], 0x4c
	s_wait_kmcnt 0x0
	s_and_b32 s4, s4, 0xffff
.LBB11_2:
	s_or_saveexec_b32 s3, s3
	v_dual_mov_b32 v3, 0 :: v_dual_mov_b32 v2, s4
	s_xor_b32 exec_lo, exec_lo, s3
	s_cbranch_execz .LBB11_6
; %bb.3:
	s_clause 0x2
	s_load_b96 s[4:6], s[0:1], 0x8
	s_load_b32 s12, s[0:1], 0x4c
	s_load_b64 s[8:9], s[0:1], 0x18
	v_dual_mov_b32 v2, 0 :: v_dual_mov_b32 v3, 0
	v_mov_b32_e32 v4, v0
	s_mul_i32 s10, s7, ttmp9
	s_wait_kmcnt 0x0
	s_mul_i32 s11, s6, ttmp9
	s_and_b32 s6, s12, 0xffff
	s_mov_b32 s12, 0
.LBB11_4:                               ; =>This Inner Loop Header: Depth=1
	v_add_nc_u32_e32 v1, s11, v4
	s_delay_alu instid0(VALU_DEP_1) | instskip(SKIP_3) | instid1(VALU_DEP_2)
	v_lshlrev_b64_e32 v[5:6], 1, v[1:2]
	v_add_nc_u32_e32 v1, s10, v4
	s_wait_alu 0xfffe
	v_add_nc_u32_e32 v4, s6, v4
	v_lshlrev_b64_e32 v[7:8], 1, v[1:2]
	s_delay_alu instid0(VALU_DEP_4) | instskip(SKIP_2) | instid1(VALU_DEP_3)
	v_add_co_u32 v5, vcc_lo, s4, v5
	s_wait_alu 0xfffd
	v_add_co_ci_u32_e64 v6, null, s5, v6, vcc_lo
	v_add_co_u32 v7, vcc_lo, s8, v7
	s_wait_alu 0xfffd
	v_add_co_ci_u32_e64 v8, null, s9, v8, vcc_lo
	global_load_u16 v1, v[5:6], off
	global_load_u16 v5, v[7:8], off
	s_wait_loadcnt 0x1
	v_lshlrev_b32_e32 v1, 16, v1
	s_wait_loadcnt 0x0
	v_lshlrev_b32_e32 v5, 16, v5
	s_delay_alu instid0(VALU_DEP_1) | instskip(NEXT) | instid1(VALU_DEP_1)
	v_add_f32_e32 v1, v1, v5
	v_bfe_u32 v5, v1, 16, 1
	v_cmp_o_f32_e32 vcc_lo, v1, v1
	s_delay_alu instid0(VALU_DEP_2) | instskip(NEXT) | instid1(VALU_DEP_1)
	v_add3_u32 v5, v1, v5, 0x7fff
	v_lshrrev_b32_e32 v5, 16, v5
	s_wait_alu 0xfffd
	s_delay_alu instid0(VALU_DEP_1) | instskip(SKIP_1) | instid1(VALU_DEP_2)
	v_cndmask_b32_e32 v1, 0x7fc0, v5, vcc_lo
	v_cmp_le_i32_e32 vcc_lo, s7, v4
	v_lshlrev_b32_e32 v5, 16, v1
	s_or_b32 s12, vcc_lo, s12
	global_store_b16 v[7:8], v1, off
	v_fmac_f32_e32 v3, v5, v5
	s_and_not1_b32 exec_lo, exec_lo, s12
	s_cbranch_execnz .LBB11_4
; %bb.5:
	s_or_b32 exec_lo, exec_lo, s12
	v_mov_b32_e32 v2, s6
.LBB11_6:
	s_or_b32 exec_lo, exec_lo, s3
	v_mbcnt_lo_u32_b32 v1, -1, 0
	v_and_b32_e32 v5, 0x3c0, v0
	s_mov_b32 s3, exec_lo
	s_delay_alu instid0(VALU_DEP_2) | instskip(NEXT) | instid1(VALU_DEP_2)
	v_cmp_ne_u32_e32 vcc_lo, 63, v1
	v_sub_nc_u32_e64 v5, v2, v5 clamp
	s_wait_alu 0xfffd
	v_add_co_ci_u32_e64 v4, null, 0, v1, vcc_lo
	v_cmp_gt_u32_e32 vcc_lo, 62, v1
	s_delay_alu instid0(VALU_DEP_2)
	v_lshlrev_b32_e32 v4, 2, v4
	s_wait_alu 0xfffd
	v_cndmask_b32_e64 v6, 0, 2, vcc_lo
	ds_bpermute_b32 v4, v4, v3
	v_add_nc_u32_e32 v7, 1, v1
	v_add_lshl_u32 v6, v6, v1, 2
	s_wait_dscnt 0x0
	v_add_f32_e32 v4, v3, v4
	s_delay_alu instid0(VALU_DEP_3) | instskip(SKIP_1) | instid1(VALU_DEP_2)
	v_cmp_lt_u32_e32 vcc_lo, v7, v5
	s_wait_alu 0xfffd
	v_cndmask_b32_e32 v3, v3, v4, vcc_lo
	v_cmp_gt_u32_e32 vcc_lo, 60, v1
	ds_bpermute_b32 v4, v6, v3
	v_add_nc_u32_e32 v7, 2, v1
	s_wait_alu 0xfffd
	v_cndmask_b32_e64 v6, 0, 4, vcc_lo
	s_delay_alu instid0(VALU_DEP_1) | instskip(SKIP_4) | instid1(VALU_DEP_2)
	v_add_lshl_u32 v6, v6, v1, 2
	s_wait_dscnt 0x0
	v_add_f32_e32 v4, v3, v4
	v_cmp_lt_u32_e32 vcc_lo, v7, v5
	s_wait_alu 0xfffd
	v_cndmask_b32_e32 v3, v3, v4, vcc_lo
	v_cmp_gt_u32_e32 vcc_lo, 56, v1
	ds_bpermute_b32 v4, v6, v3
	v_add_nc_u32_e32 v7, 4, v1
	s_wait_alu 0xfffd
	v_cndmask_b32_e64 v6, 0, 8, vcc_lo
	s_delay_alu instid0(VALU_DEP_1) | instskip(SKIP_4) | instid1(VALU_DEP_2)
	v_add_lshl_u32 v6, v6, v1, 2
	s_wait_dscnt 0x0
	v_add_f32_e32 v4, v3, v4
	;; [unrolled: 12-line block ×3, first 2 shown]
	v_cmp_lt_u32_e32 vcc_lo, v7, v5
	s_wait_alu 0xfffd
	v_cndmask_b32_e32 v4, v3, v4, vcc_lo
	ds_bpermute_b32 v3, v6, v4
	v_add_nc_u32_e32 v6, 16, v1
	s_delay_alu instid0(VALU_DEP_1) | instskip(SKIP_3) | instid1(VALU_DEP_1)
	v_cmp_lt_u32_e32 vcc_lo, v6, v5
	s_wait_dscnt 0x0
	v_add_f32_e32 v7, v4, v3
	s_wait_alu 0xfffd
	v_dual_cndmask_b32 v4, v4, v7 :: v_dual_lshlrev_b32 v3, 2, v1
	v_or_b32_e32 v7, 32, v1
	ds_bpermute_b32 v6, v3, v4 offset:128
	v_cmp_lt_u32_e32 vcc_lo, v7, v5
	s_wait_dscnt 0x0
	v_add_f32_e32 v6, v4, v6
	s_wait_alu 0xfffd
	s_delay_alu instid0(VALU_DEP_1)
	v_cndmask_b32_e32 v4, v4, v6, vcc_lo
	v_cmpx_eq_u32_e32 0, v1
; %bb.7:
	v_lshrrev_b32_e32 v5, 4, v0
	s_delay_alu instid0(VALU_DEP_1)
	v_and_b32_e32 v5, 60, v5
	ds_store_b32 v5, v4
; %bb.8:
	s_or_b32 exec_lo, exec_lo, s3
	s_delay_alu instid0(SALU_CYCLE_1)
	s_mov_b32 s4, exec_lo
	s_wait_storecnt_dscnt 0x0
	s_barrier_signal -1
	s_barrier_wait -1
	global_inv scope:SCOPE_SE
	v_cmpx_gt_u32_e32 16, v0
	s_cbranch_execz .LBB11_10
; %bb.9:
	ds_load_b32 v4, v3
	v_and_b32_e32 v5, 15, v1
	v_add_nc_u32_e32 v2, 63, v2
	v_or_b32_e32 v3, 32, v3
	s_delay_alu instid0(VALU_DEP_3) | instskip(NEXT) | instid1(VALU_DEP_3)
	v_cmp_ne_u32_e32 vcc_lo, 15, v5
	v_lshrrev_b32_e32 v2, 6, v2
	s_wait_alu 0xfffd
	v_add_co_ci_u32_e64 v6, null, 0, v1, vcc_lo
	s_delay_alu instid0(VALU_DEP_1)
	v_lshlrev_b32_e32 v6, 2, v6
	s_wait_dscnt 0x0
	ds_bpermute_b32 v6, v6, v4
	s_wait_dscnt 0x0
	v_add_f32_e32 v6, v4, v6
	v_cmp_gt_u32_e32 vcc_lo, 14, v5
	v_add_nc_u32_e32 v8, 1, v5
	v_cmp_gt_u32_e64 s3, 12, v5
	v_add_nc_u32_e32 v9, 2, v5
	s_wait_alu 0xfffd
	v_cndmask_b32_e64 v7, 0, 2, vcc_lo
	v_cmp_lt_u32_e32 vcc_lo, v8, v2
	v_cndmask_b32_e64 v8, 0, 4, s3
	v_cmp_lt_u32_e64 s3, v9, v2
	s_delay_alu instid0(VALU_DEP_4)
	v_add_lshl_u32 v7, v7, v1, 2
	s_wait_alu 0xfffd
	v_cndmask_b32_e32 v6, v4, v6, vcc_lo
	v_add_lshl_u32 v1, v8, v1, 2
	ds_bpermute_b32 v7, v7, v6
	s_wait_dscnt 0x0
	v_add_f32_e32 v7, v6, v7
	s_wait_alu 0xf1ff
	s_delay_alu instid0(VALU_DEP_1)
	v_cndmask_b32_e64 v6, v6, v7, s3
	v_add_nc_u32_e32 v7, 4, v5
	v_add_nc_u32_e32 v5, 8, v5
	ds_bpermute_b32 v1, v1, v6
	v_cmp_lt_u32_e64 s3, v7, v2
	s_wait_dscnt 0x0
	v_add_f32_e32 v1, v6, v1
	s_wait_alu 0xf1ff
	s_delay_alu instid0(VALU_DEP_1)
	v_cndmask_b32_e64 v1, v6, v1, s3
	v_cmp_lt_u32_e64 s3, v5, v2
	ds_bpermute_b32 v3, v3, v1
	s_wait_dscnt 0x0
	v_add_f32_e32 v3, v1, v3
	s_wait_alu 0xf1ff
	s_delay_alu instid0(VALU_DEP_1) | instskip(NEXT) | instid1(VALU_DEP_1)
	v_cndmask_b32_e64 v1, v1, v3, s3
	v_cndmask_b32_e32 v4, v4, v1, vcc_lo
.LBB11_10:
	s_wait_alu 0xfffe
	s_or_b32 exec_lo, exec_lo, s4
	s_delay_alu instid0(SALU_CYCLE_1)
	s_mov_b32 s3, exec_lo
	v_cmpx_eq_u32_e32 0, v0
	s_cbranch_execz .LBB11_12
; %bb.11:
	s_cvt_f32_i32 s4, s7
	s_load_b32 s0, s[0:1], 0x30
	s_delay_alu instid0(SALU_CYCLE_2) | instskip(SKIP_1) | instid1(VALU_DEP_2)
	v_div_scale_f32 v0, null, s4, s4, v4
	v_div_scale_f32 v3, vcc_lo, v4, s4, v4
	v_rcp_f32_e32 v1, v0
	s_delay_alu instid0(TRANS32_DEP_1) | instskip(NEXT) | instid1(VALU_DEP_1)
	v_fma_f32 v2, -v0, v1, 1.0
	v_fmac_f32_e32 v1, v2, v1
	s_delay_alu instid0(VALU_DEP_1) | instskip(NEXT) | instid1(VALU_DEP_1)
	v_mul_f32_e32 v2, v3, v1
	v_fma_f32 v5, -v0, v2, v3
	s_delay_alu instid0(VALU_DEP_1) | instskip(NEXT) | instid1(VALU_DEP_1)
	v_fmac_f32_e32 v2, v5, v1
	v_fma_f32 v0, -v0, v2, v3
	s_wait_alu 0xfffd
	s_delay_alu instid0(VALU_DEP_1) | instskip(NEXT) | instid1(VALU_DEP_1)
	v_div_fmas_f32 v0, v0, v1, v2
	v_div_fixup_f32 v0, v0, s4, v4
	s_wait_kmcnt 0x0
	s_delay_alu instid0(VALU_DEP_1) | instskip(NEXT) | instid1(VALU_DEP_1)
	v_add_f32_e32 v0, s0, v0
	v_mul_f32_e32 v1, 0x4b800000, v0
	v_cmp_gt_f32_e32 vcc_lo, 0x800000, v0
	s_wait_alu 0xfffd
	s_delay_alu instid0(VALU_DEP_2) | instskip(NEXT) | instid1(VALU_DEP_1)
	v_cndmask_b32_e32 v0, v0, v1, vcc_lo
	v_rsq_f32_e32 v0, v0
	s_delay_alu instid0(TRANS32_DEP_1) | instskip(NEXT) | instid1(VALU_DEP_1)
	v_mul_f32_e32 v1, 0x45800000, v0
	v_dual_cndmask_b32 v0, v0, v1 :: v_dual_mov_b32 v1, 0
	ds_store_b32 v1, v0 offset:64
.LBB11_12:
	s_wait_alu 0xfffe
	s_or_b32 exec_lo, exec_lo, s3
	s_wait_loadcnt_dscnt 0x0
	s_barrier_signal -1
	s_barrier_wait -1
	global_inv scope:SCOPE_SE
	s_and_saveexec_b32 s0, s2
	s_cbranch_execnz .LBB11_14
; %bb.13:
	s_endpgm
.LBB11_14:
	s_trap 2
	; divergent unreachable
	s_endpgm
	.section	.rodata,"a",@progbits
	.p2align	6, 0x0
	.amdhsa_kernel _ZN4vllm42fused_add_rms_norm_static_fp8_quant_kernelIN3c108BFloat16ELi8ENS1_15Float8_e4m3fnuzEEENSt9enable_ifIXooeqT0_Li0Entsr12_typeConvertIT_EE6existsEvE4typeEPT1_PS5_iSA_PKS5_PKffii
		.amdhsa_group_segment_fixed_size 68
		.amdhsa_private_segment_fixed_size 0
		.amdhsa_kernarg_size 320
		.amdhsa_user_sgpr_count 2
		.amdhsa_user_sgpr_dispatch_ptr 0
		.amdhsa_user_sgpr_queue_ptr 0
		.amdhsa_user_sgpr_kernarg_segment_ptr 1
		.amdhsa_user_sgpr_dispatch_id 0
		.amdhsa_user_sgpr_private_segment_size 0
		.amdhsa_wavefront_size32 1
		.amdhsa_uses_dynamic_stack 0
		.amdhsa_enable_private_segment 0
		.amdhsa_system_sgpr_workgroup_id_x 1
		.amdhsa_system_sgpr_workgroup_id_y 0
		.amdhsa_system_sgpr_workgroup_id_z 0
		.amdhsa_system_sgpr_workgroup_info 0
		.amdhsa_system_vgpr_workitem_id 0
		.amdhsa_next_free_vgpr 10
		.amdhsa_next_free_sgpr 13
		.amdhsa_reserve_vcc 1
		.amdhsa_float_round_mode_32 0
		.amdhsa_float_round_mode_16_64 0
		.amdhsa_float_denorm_mode_32 3
		.amdhsa_float_denorm_mode_16_64 3
		.amdhsa_fp16_overflow 0
		.amdhsa_workgroup_processor_mode 1
		.amdhsa_memory_ordered 1
		.amdhsa_forward_progress 1
		.amdhsa_inst_pref_size 11
		.amdhsa_round_robin_scheduling 0
		.amdhsa_exception_fp_ieee_invalid_op 0
		.amdhsa_exception_fp_denorm_src 0
		.amdhsa_exception_fp_ieee_div_zero 0
		.amdhsa_exception_fp_ieee_overflow 0
		.amdhsa_exception_fp_ieee_underflow 0
		.amdhsa_exception_fp_ieee_inexact 0
		.amdhsa_exception_int_div_zero 0
	.end_amdhsa_kernel
	.section	.text._ZN4vllm42fused_add_rms_norm_static_fp8_quant_kernelIN3c108BFloat16ELi8ENS1_15Float8_e4m3fnuzEEENSt9enable_ifIXooeqT0_Li0Entsr12_typeConvertIT_EE6existsEvE4typeEPT1_PS5_iSA_PKS5_PKffii,"axG",@progbits,_ZN4vllm42fused_add_rms_norm_static_fp8_quant_kernelIN3c108BFloat16ELi8ENS1_15Float8_e4m3fnuzEEENSt9enable_ifIXooeqT0_Li0Entsr12_typeConvertIT_EE6existsEvE4typeEPT1_PS5_iSA_PKS5_PKffii,comdat
.Lfunc_end11:
	.size	_ZN4vllm42fused_add_rms_norm_static_fp8_quant_kernelIN3c108BFloat16ELi8ENS1_15Float8_e4m3fnuzEEENSt9enable_ifIXooeqT0_Li0Entsr12_typeConvertIT_EE6existsEvE4typeEPT1_PS5_iSA_PKS5_PKffii, .Lfunc_end11-_ZN4vllm42fused_add_rms_norm_static_fp8_quant_kernelIN3c108BFloat16ELi8ENS1_15Float8_e4m3fnuzEEENSt9enable_ifIXooeqT0_Li0Entsr12_typeConvertIT_EE6existsEvE4typeEPT1_PS5_iSA_PKS5_PKffii
                                        ; -- End function
	.set _ZN4vllm42fused_add_rms_norm_static_fp8_quant_kernelIN3c108BFloat16ELi8ENS1_15Float8_e4m3fnuzEEENSt9enable_ifIXooeqT0_Li0Entsr12_typeConvertIT_EE6existsEvE4typeEPT1_PS5_iSA_PKS5_PKffii.num_vgpr, 10
	.set _ZN4vllm42fused_add_rms_norm_static_fp8_quant_kernelIN3c108BFloat16ELi8ENS1_15Float8_e4m3fnuzEEENSt9enable_ifIXooeqT0_Li0Entsr12_typeConvertIT_EE6existsEvE4typeEPT1_PS5_iSA_PKS5_PKffii.num_agpr, 0
	.set _ZN4vllm42fused_add_rms_norm_static_fp8_quant_kernelIN3c108BFloat16ELi8ENS1_15Float8_e4m3fnuzEEENSt9enable_ifIXooeqT0_Li0Entsr12_typeConvertIT_EE6existsEvE4typeEPT1_PS5_iSA_PKS5_PKffii.numbered_sgpr, 13
	.set _ZN4vllm42fused_add_rms_norm_static_fp8_quant_kernelIN3c108BFloat16ELi8ENS1_15Float8_e4m3fnuzEEENSt9enable_ifIXooeqT0_Li0Entsr12_typeConvertIT_EE6existsEvE4typeEPT1_PS5_iSA_PKS5_PKffii.num_named_barrier, 0
	.set _ZN4vllm42fused_add_rms_norm_static_fp8_quant_kernelIN3c108BFloat16ELi8ENS1_15Float8_e4m3fnuzEEENSt9enable_ifIXooeqT0_Li0Entsr12_typeConvertIT_EE6existsEvE4typeEPT1_PS5_iSA_PKS5_PKffii.private_seg_size, 0
	.set _ZN4vllm42fused_add_rms_norm_static_fp8_quant_kernelIN3c108BFloat16ELi8ENS1_15Float8_e4m3fnuzEEENSt9enable_ifIXooeqT0_Li0Entsr12_typeConvertIT_EE6existsEvE4typeEPT1_PS5_iSA_PKS5_PKffii.uses_vcc, 1
	.set _ZN4vllm42fused_add_rms_norm_static_fp8_quant_kernelIN3c108BFloat16ELi8ENS1_15Float8_e4m3fnuzEEENSt9enable_ifIXooeqT0_Li0Entsr12_typeConvertIT_EE6existsEvE4typeEPT1_PS5_iSA_PKS5_PKffii.uses_flat_scratch, 0
	.set _ZN4vllm42fused_add_rms_norm_static_fp8_quant_kernelIN3c108BFloat16ELi8ENS1_15Float8_e4m3fnuzEEENSt9enable_ifIXooeqT0_Li0Entsr12_typeConvertIT_EE6existsEvE4typeEPT1_PS5_iSA_PKS5_PKffii.has_dyn_sized_stack, 0
	.set _ZN4vllm42fused_add_rms_norm_static_fp8_quant_kernelIN3c108BFloat16ELi8ENS1_15Float8_e4m3fnuzEEENSt9enable_ifIXooeqT0_Li0Entsr12_typeConvertIT_EE6existsEvE4typeEPT1_PS5_iSA_PKS5_PKffii.has_recursion, 0
	.set _ZN4vllm42fused_add_rms_norm_static_fp8_quant_kernelIN3c108BFloat16ELi8ENS1_15Float8_e4m3fnuzEEENSt9enable_ifIXooeqT0_Li0Entsr12_typeConvertIT_EE6existsEvE4typeEPT1_PS5_iSA_PKS5_PKffii.has_indirect_call, 0
	.section	.AMDGPU.csdata,"",@progbits
; Kernel info:
; codeLenInByte = 1332
; TotalNumSgprs: 15
; NumVgprs: 10
; ScratchSize: 0
; MemoryBound: 0
; FloatMode: 240
; IeeeMode: 1
; LDSByteSize: 68 bytes/workgroup (compile time only)
; SGPRBlocks: 0
; VGPRBlocks: 1
; NumSGPRsForWavesPerEU: 15
; NumVGPRsForWavesPerEU: 10
; Occupancy: 16
; WaveLimiterHint : 0
; COMPUTE_PGM_RSRC2:SCRATCH_EN: 0
; COMPUTE_PGM_RSRC2:USER_SGPR: 2
; COMPUTE_PGM_RSRC2:TRAP_HANDLER: 0
; COMPUTE_PGM_RSRC2:TGID_X_EN: 1
; COMPUTE_PGM_RSRC2:TGID_Y_EN: 0
; COMPUTE_PGM_RSRC2:TGID_Z_EN: 0
; COMPUTE_PGM_RSRC2:TIDIG_COMP_CNT: 0
	.section	.text._ZN4vllm42fused_add_rms_norm_static_fp8_quant_kernelIfLi0EN3c1013Float8_e4m3fnEEENSt9enable_ifIXooeqT0_Li0Entsr12_typeConvertIT_EE6existsEvE4typeEPT1_PS4_iS9_PKS4_PKffii,"axG",@progbits,_ZN4vllm42fused_add_rms_norm_static_fp8_quant_kernelIfLi0EN3c1013Float8_e4m3fnEEENSt9enable_ifIXooeqT0_Li0Entsr12_typeConvertIT_EE6existsEvE4typeEPT1_PS4_iS9_PKS4_PKffii,comdat
	.protected	_ZN4vllm42fused_add_rms_norm_static_fp8_quant_kernelIfLi0EN3c1013Float8_e4m3fnEEENSt9enable_ifIXooeqT0_Li0Entsr12_typeConvertIT_EE6existsEvE4typeEPT1_PS4_iS9_PKS4_PKffii ; -- Begin function _ZN4vllm42fused_add_rms_norm_static_fp8_quant_kernelIfLi0EN3c1013Float8_e4m3fnEEENSt9enable_ifIXooeqT0_Li0Entsr12_typeConvertIT_EE6existsEvE4typeEPT1_PS4_iS9_PKS4_PKffii
	.globl	_ZN4vllm42fused_add_rms_norm_static_fp8_quant_kernelIfLi0EN3c1013Float8_e4m3fnEEENSt9enable_ifIXooeqT0_Li0Entsr12_typeConvertIT_EE6existsEvE4typeEPT1_PS4_iS9_PKS4_PKffii
	.p2align	8
	.type	_ZN4vllm42fused_add_rms_norm_static_fp8_quant_kernelIfLi0EN3c1013Float8_e4m3fnEEENSt9enable_ifIXooeqT0_Li0Entsr12_typeConvertIT_EE6existsEvE4typeEPT1_PS4_iS9_PKS4_PKffii,@function
_ZN4vllm42fused_add_rms_norm_static_fp8_quant_kernelIfLi0EN3c1013Float8_e4m3fnEEENSt9enable_ifIXooeqT0_Li0Entsr12_typeConvertIT_EE6existsEvE4typeEPT1_PS4_iS9_PKS4_PKffii: ; @_ZN4vllm42fused_add_rms_norm_static_fp8_quant_kernelIfLi0EN3c1013Float8_e4m3fnEEENSt9enable_ifIXooeqT0_Li0Entsr12_typeConvertIT_EE6existsEvE4typeEPT1_PS4_iS9_PKS4_PKffii
; %bb.0:
	s_clause 0x1
	s_load_b32 s11, s[0:1], 0x38
	s_load_b64 s[12:13], s[0:1], 0x18
	s_mov_b32 s3, exec_lo
                                        ; implicit-def: $sgpr8
                                        ; implicit-def: $sgpr9
	s_wait_kmcnt 0x0
	v_cmp_gt_i32_e64 s2, s11, v0
	v_cmpx_le_i32_e64 s11, v0
	s_xor_b32 s3, exec_lo, s3
	s_cbranch_execz .LBB12_2
; %bb.1:
	s_load_b32 s4, s[0:1], 0x4c
	s_mov_b32 s8, ttmp9
	s_wait_kmcnt 0x0
	s_and_b32 s9, s4, 0xffff
.LBB12_2:
	s_or_saveexec_b32 s3, s3
	s_clause 0x1
	s_load_b64 s[14:15], s[0:1], 0x0
	s_load_b128 s[4:7], s[0:1], 0x20
	v_dual_mov_b32 v3, 0 :: v_dual_mov_b32 v4, s9
	v_mov_b32_e32 v1, s8
	s_xor_b32 exec_lo, exec_lo, s3
	s_cbranch_execz .LBB12_6
; %bb.3:
	s_clause 0x1
	s_load_b96 s[8:10], s[0:1], 0x8
	s_load_b32 s18, s[0:1], 0x4c
	v_dual_mov_b32 v2, 0 :: v_dual_mov_b32 v3, 0
	v_mov_b32_e32 v4, v0
	s_mul_i32 s16, s11, ttmp9
	s_wait_kmcnt 0x0
	s_mul_i32 s17, s10, ttmp9
	s_and_b32 s10, s18, 0xffff
	s_mov_b32 s18, 0
.LBB12_4:                               ; =>This Inner Loop Header: Depth=1
	v_add_nc_u32_e32 v1, s17, v4
	s_delay_alu instid0(VALU_DEP_1) | instskip(SKIP_1) | instid1(VALU_DEP_1)
	v_lshlrev_b64_e32 v[5:6], 2, v[1:2]
	v_add_nc_u32_e32 v1, s16, v4
	v_lshlrev_b64_e32 v[7:8], 2, v[1:2]
	s_delay_alu instid0(VALU_DEP_3) | instskip(SKIP_1) | instid1(VALU_DEP_4)
	v_add_co_u32 v5, vcc_lo, s8, v5
	s_wait_alu 0xfffd
	v_add_co_ci_u32_e64 v6, null, s9, v6, vcc_lo
	s_delay_alu instid0(VALU_DEP_3)
	v_add_co_u32 v7, vcc_lo, s12, v7
	s_wait_alu 0xfffd
	v_add_co_ci_u32_e64 v8, null, s13, v8, vcc_lo
	global_load_b32 v1, v[5:6], off
	global_load_b32 v5, v[7:8], off
	s_wait_loadcnt 0x0
	s_wait_alu 0xfffe
	v_dual_add_f32 v1, v1, v5 :: v_dual_add_nc_u32 v4, s10, v4
	s_delay_alu instid0(VALU_DEP_1) | instskip(NEXT) | instid1(VALU_DEP_2)
	v_cmp_le_i32_e32 vcc_lo, s11, v4
	v_fmac_f32_e32 v3, v1, v1
	s_or_b32 s18, vcc_lo, s18
	global_store_b32 v[7:8], v1, off
	s_and_not1_b32 exec_lo, exec_lo, s18
	s_cbranch_execnz .LBB12_4
; %bb.5:
	s_or_b32 exec_lo, exec_lo, s18
	v_dual_mov_b32 v1, ttmp9 :: v_dual_mov_b32 v4, s10
.LBB12_6:
	s_or_b32 exec_lo, exec_lo, s3
	v_mbcnt_lo_u32_b32 v2, -1, 0
	s_mov_b32 s3, exec_lo
	s_delay_alu instid0(VALU_DEP_1) | instskip(SKIP_3) | instid1(VALU_DEP_2)
	v_cmp_ne_u32_e32 vcc_lo, 63, v2
	s_wait_alu 0xfffd
	v_add_co_ci_u32_e64 v5, null, 0, v2, vcc_lo
	v_cmp_gt_u32_e32 vcc_lo, 62, v2
	v_lshlrev_b32_e32 v5, 2, v5
	s_wait_alu 0xfffd
	v_cndmask_b32_e64 v7, 0, 2, vcc_lo
	ds_bpermute_b32 v5, v5, v3
	v_and_b32_e32 v6, 0x3c0, v0
	v_add_lshl_u32 v7, v7, v2, 2
	s_wait_dscnt 0x0
	v_add_f32_e32 v5, v3, v5
	s_delay_alu instid0(VALU_DEP_3) | instskip(SKIP_1) | instid1(VALU_DEP_1)
	v_sub_nc_u32_e64 v6, v4, v6 clamp
	v_add_nc_u32_e32 v8, 1, v2
	v_cmp_lt_u32_e32 vcc_lo, v8, v6
	s_wait_alu 0xfffd
	v_cndmask_b32_e32 v3, v3, v5, vcc_lo
	v_cmp_gt_u32_e32 vcc_lo, 60, v2
	ds_bpermute_b32 v5, v7, v3
	v_add_nc_u32_e32 v8, 2, v2
	s_wait_alu 0xfffd
	v_cndmask_b32_e64 v7, 0, 4, vcc_lo
	s_delay_alu instid0(VALU_DEP_1) | instskip(SKIP_4) | instid1(VALU_DEP_2)
	v_add_lshl_u32 v7, v7, v2, 2
	s_wait_dscnt 0x0
	v_add_f32_e32 v5, v3, v5
	v_cmp_lt_u32_e32 vcc_lo, v8, v6
	s_wait_alu 0xfffd
	v_dual_cndmask_b32 v3, v3, v5 :: v_dual_add_nc_u32 v8, 4, v2
	v_cmp_gt_u32_e32 vcc_lo, 56, v2
	ds_bpermute_b32 v5, v7, v3
	s_wait_alu 0xfffd
	v_cndmask_b32_e64 v7, 0, 8, vcc_lo
	v_cmp_lt_u32_e32 vcc_lo, v8, v6
	v_add_nc_u32_e32 v8, 8, v2
	s_delay_alu instid0(VALU_DEP_3) | instskip(SKIP_3) | instid1(VALU_DEP_1)
	v_add_lshl_u32 v7, v7, v2, 2
	s_wait_dscnt 0x0
	v_add_f32_e32 v5, v3, v5
	s_wait_alu 0xfffd
	v_cndmask_b32_e32 v3, v3, v5, vcc_lo
	v_cmp_gt_u32_e32 vcc_lo, 48, v2
	ds_bpermute_b32 v5, v7, v3
	s_wait_alu 0xfffd
	v_cndmask_b32_e64 v7, 0, 16, vcc_lo
	v_cmp_lt_u32_e32 vcc_lo, v8, v6
	s_delay_alu instid0(VALU_DEP_2) | instskip(SKIP_3) | instid1(VALU_DEP_1)
	v_add_lshl_u32 v7, v7, v2, 2
	s_wait_dscnt 0x0
	v_add_f32_e32 v5, v3, v5
	s_wait_alu 0xfffd
	v_cndmask_b32_e32 v5, v3, v5, vcc_lo
	ds_bpermute_b32 v3, v7, v5
	s_wait_dscnt 0x0
	v_dual_add_f32 v8, v5, v3 :: v_dual_add_nc_u32 v7, 16, v2
	s_delay_alu instid0(VALU_DEP_1) | instskip(SKIP_2) | instid1(VALU_DEP_3)
	v_cmp_lt_u32_e32 vcc_lo, v7, v6
	v_lshlrev_b32_e32 v3, 2, v2
	s_wait_alu 0xfffd
	v_cndmask_b32_e32 v5, v5, v8, vcc_lo
	v_or_b32_e32 v8, 32, v2
	ds_bpermute_b32 v7, v3, v5 offset:128
	v_cmp_lt_u32_e32 vcc_lo, v8, v6
	s_wait_dscnt 0x0
	v_add_f32_e32 v7, v5, v7
	s_wait_alu 0xfffd
	s_delay_alu instid0(VALU_DEP_1)
	v_cndmask_b32_e32 v5, v5, v7, vcc_lo
	v_cmpx_eq_u32_e32 0, v2
; %bb.7:
	v_lshrrev_b32_e32 v6, 4, v0
	s_delay_alu instid0(VALU_DEP_1)
	v_and_b32_e32 v6, 60, v6
	ds_store_b32 v6, v5
; %bb.8:
	s_or_b32 exec_lo, exec_lo, s3
	s_delay_alu instid0(SALU_CYCLE_1)
	s_mov_b32 s8, exec_lo
	s_wait_storecnt_dscnt 0x0
	s_barrier_signal -1
	s_barrier_wait -1
	global_inv scope:SCOPE_SE
	v_cmpx_gt_u32_e32 16, v0
	s_cbranch_execz .LBB12_10
; %bb.9:
	ds_load_b32 v5, v3
	v_and_b32_e32 v6, 15, v2
	v_or_b32_e32 v3, 32, v3
	s_delay_alu instid0(VALU_DEP_2) | instskip(SKIP_2) | instid1(VALU_DEP_1)
	v_cmp_ne_u32_e32 vcc_lo, 15, v6
	s_wait_alu 0xfffd
	v_add_co_ci_u32_e64 v7, null, 0, v2, vcc_lo
	v_lshlrev_b32_e32 v7, 2, v7
	s_wait_dscnt 0x0
	ds_bpermute_b32 v7, v7, v5
	s_wait_dscnt 0x0
	v_dual_add_f32 v7, v5, v7 :: v_dual_add_nc_u32 v8, 63, v4
	v_cmp_gt_u32_e32 vcc_lo, 14, v6
	v_add_nc_u32_e32 v10, 1, v6
	v_cmp_gt_u32_e64 s3, 12, v6
	v_add_nc_u32_e32 v11, 2, v6
	v_lshrrev_b32_e32 v8, 6, v8
	s_wait_alu 0xfffd
	v_cndmask_b32_e64 v9, 0, 2, vcc_lo
	s_delay_alu instid0(VALU_DEP_2) | instskip(NEXT) | instid1(VALU_DEP_2)
	v_cmp_lt_u32_e32 vcc_lo, v10, v8
	v_add_lshl_u32 v9, v9, v2, 2
	v_cndmask_b32_e64 v10, 0, 4, s3
	v_cmp_lt_u32_e64 s3, v11, v8
	s_wait_alu 0xfffd
	v_cndmask_b32_e32 v7, v5, v7, vcc_lo
	s_delay_alu instid0(VALU_DEP_3) | instskip(SKIP_4) | instid1(VALU_DEP_1)
	v_add_lshl_u32 v2, v10, v2, 2
	ds_bpermute_b32 v9, v9, v7
	s_wait_dscnt 0x0
	v_add_f32_e32 v9, v7, v9
	s_wait_alu 0xf1ff
	v_cndmask_b32_e64 v7, v7, v9, s3
	v_add_nc_u32_e32 v9, 4, v6
	ds_bpermute_b32 v2, v2, v7
	v_cmp_lt_u32_e64 s3, v9, v8
	s_wait_dscnt 0x0
	v_add_f32_e32 v2, v7, v2
	s_wait_alu 0xf1ff
	s_delay_alu instid0(VALU_DEP_1) | instskip(SKIP_3) | instid1(VALU_DEP_1)
	v_cndmask_b32_e64 v2, v7, v2, s3
	ds_bpermute_b32 v3, v3, v2
	s_wait_dscnt 0x0
	v_dual_add_f32 v3, v2, v3 :: v_dual_add_nc_u32 v6, 8, v6
	v_cmp_lt_u32_e64 s3, v6, v8
	s_wait_alu 0xf1ff
	s_delay_alu instid0(VALU_DEP_1) | instskip(NEXT) | instid1(VALU_DEP_1)
	v_cndmask_b32_e64 v2, v2, v3, s3
	v_cndmask_b32_e32 v5, v5, v2, vcc_lo
.LBB12_10:
	s_wait_alu 0xfffe
	s_or_b32 exec_lo, exec_lo, s8
	s_delay_alu instid0(SALU_CYCLE_1)
	s_mov_b32 s3, exec_lo
	v_cmpx_eq_u32_e32 0, v0
	s_cbranch_execz .LBB12_12
; %bb.11:
	s_cvt_f32_i32 s8, s11
	s_load_b32 s0, s[0:1], 0x30
	s_delay_alu instid0(SALU_CYCLE_2) | instskip(SKIP_1) | instid1(VALU_DEP_2)
	v_div_scale_f32 v2, null, s8, s8, v5
	v_div_scale_f32 v7, vcc_lo, v5, s8, v5
	v_rcp_f32_e32 v3, v2
	s_delay_alu instid0(TRANS32_DEP_1) | instskip(NEXT) | instid1(VALU_DEP_1)
	v_fma_f32 v6, -v2, v3, 1.0
	v_fmac_f32_e32 v3, v6, v3
	s_delay_alu instid0(VALU_DEP_1) | instskip(NEXT) | instid1(VALU_DEP_1)
	v_mul_f32_e32 v6, v7, v3
	v_fma_f32 v8, -v2, v6, v7
	s_delay_alu instid0(VALU_DEP_1) | instskip(NEXT) | instid1(VALU_DEP_1)
	v_fmac_f32_e32 v6, v8, v3
	v_fma_f32 v2, -v2, v6, v7
	s_wait_alu 0xfffd
	s_delay_alu instid0(VALU_DEP_1) | instskip(NEXT) | instid1(VALU_DEP_1)
	v_div_fmas_f32 v2, v2, v3, v6
	v_div_fixup_f32 v2, v2, s8, v5
	s_wait_kmcnt 0x0
	s_delay_alu instid0(VALU_DEP_1) | instskip(NEXT) | instid1(VALU_DEP_1)
	v_add_f32_e32 v2, s0, v2
	v_mul_f32_e32 v3, 0x4b800000, v2
	v_cmp_gt_f32_e32 vcc_lo, 0x800000, v2
	s_wait_alu 0xfffd
	s_delay_alu instid0(VALU_DEP_2) | instskip(NEXT) | instid1(VALU_DEP_1)
	v_cndmask_b32_e32 v2, v2, v3, vcc_lo
	v_rsq_f32_e32 v2, v2
	s_delay_alu instid0(TRANS32_DEP_1) | instskip(NEXT) | instid1(VALU_DEP_1)
	v_mul_f32_e32 v3, 0x45800000, v2
	v_dual_cndmask_b32 v2, v2, v3 :: v_dual_mov_b32 v3, 0
	ds_store_b32 v3, v2 offset:64
.LBB12_12:
	s_wait_alu 0xfffe
	s_or_b32 exec_lo, exec_lo, s3
	s_wait_loadcnt_dscnt 0x0
	s_barrier_signal -1
	s_barrier_wait -1
	global_inv scope:SCOPE_SE
	s_and_saveexec_b32 s0, s2
	s_cbranch_execz .LBB12_15
; %bb.13:
	s_wait_kmcnt 0x0
	s_load_b32 s0, s[6:7], 0x0
	s_mov_b32 s1, 0x43e00000
	s_wait_kmcnt 0x0
	v_div_scale_f32 v2, null, s0, s0, 1.0
	v_div_scale_f32 v7, vcc_lo, 1.0, s0, 1.0
	s_delay_alu instid0(VALU_DEP_2)
	v_rcp_f32_e32 v6, v2
	v_xor_b32_e32 v2, 0x80000000, v2
	s_delay_alu instid0(TRANS32_DEP_1) | instid1(VALU_DEP_1)
	v_fma_f32 v3, v2, v6, 1.0
	s_delay_alu instid0(VALU_DEP_1) | instskip(NEXT) | instid1(VALU_DEP_1)
	v_dual_fmac_f32 v6, v3, v6 :: v_dual_mov_b32 v3, 0
	v_mul_f32_e32 v8, v7, v6
	s_delay_alu instid0(VALU_DEP_1) | instskip(NEXT) | instid1(VALU_DEP_1)
	v_fma_f32 v5, v2, v8, v7
	v_fmac_f32_e32 v8, v5, v6
	ds_load_b32 v5, v3 offset:64
	v_fmac_f32_e32 v7, v2, v8
	s_wait_alu 0xfffd
	s_delay_alu instid0(VALU_DEP_1) | instskip(SKIP_1) | instid1(VALU_DEP_2)
	v_div_fmas_f32 v2, v7, v6, v8
	v_mul_lo_u32 v6, s11, v1
	v_div_fixup_f32 v7, v2, s0, 1.0
	s_mov_b32 s0, 0
.LBB12_14:                              ; =>This Inner Loop Header: Depth=1
	s_delay_alu instid0(VALU_DEP_2) | instskip(SKIP_1) | instid1(VALU_DEP_2)
	v_add_nc_u32_e32 v2, v6, v0
	v_ashrrev_i32_e32 v1, 31, v0
	v_lshlrev_b64_e32 v[8:9], 2, v[2:3]
	s_delay_alu instid0(VALU_DEP_2) | instskip(SKIP_1) | instid1(VALU_DEP_3)
	v_lshlrev_b64_e32 v[10:11], 2, v[0:1]
	v_add_nc_u32_e32 v0, v0, v4
	v_add_co_u32 v8, vcc_lo, s12, v8
	s_wait_alu 0xfffd
	s_delay_alu instid0(VALU_DEP_4) | instskip(NEXT) | instid1(VALU_DEP_4)
	v_add_co_ci_u32_e64 v9, null, s13, v9, vcc_lo
	v_add_co_u32 v10, vcc_lo, s4, v10
	s_wait_alu 0xfffd
	v_add_co_ci_u32_e64 v11, null, s5, v11, vcc_lo
	global_load_b32 v1, v[8:9], off
	global_load_b32 v8, v[10:11], off
	v_mov_b32_e32 v9, v3
	s_wait_loadcnt_dscnt 0x100
	v_mul_f32_e32 v1, v1, v5
	s_wait_loadcnt 0x0
	s_delay_alu instid0(VALU_DEP_1) | instskip(NEXT) | instid1(VALU_DEP_1)
	v_mul_f32_e32 v1, v1, v8
	v_mul_f32_e32 v1, v7, v1
	s_wait_alu 0xfffe
	s_delay_alu instid0(VALU_DEP_1) | instskip(NEXT) | instid1(VALU_DEP_1)
	v_minmax_num_f32 v1, v1, s1, 0xc3e00000
	v_med3_num_f32 v8, v1, s1, 0xc3e00000
	v_cmp_nlg_f32_e64 vcc_lo, 0x7f800000, |v1|
	s_wait_alu 0xfffd
	s_delay_alu instid0(VALU_DEP_2) | instskip(SKIP_1) | instid1(VALU_DEP_2)
	v_cndmask_b32_e32 v1, v8, v1, vcc_lo
	v_cmp_le_i32_e32 vcc_lo, s11, v0
	v_cvt_pk_fp8_f32 v9, v1, v1
	s_or_b32 s0, vcc_lo, s0
	global_store_b8 v2, v9, s[14:15]
	s_wait_alu 0xfffe
	s_and_not1_b32 exec_lo, exec_lo, s0
	s_cbranch_execnz .LBB12_14
.LBB12_15:
	s_endpgm
	.section	.rodata,"a",@progbits
	.p2align	6, 0x0
	.amdhsa_kernel _ZN4vllm42fused_add_rms_norm_static_fp8_quant_kernelIfLi0EN3c1013Float8_e4m3fnEEENSt9enable_ifIXooeqT0_Li0Entsr12_typeConvertIT_EE6existsEvE4typeEPT1_PS4_iS9_PKS4_PKffii
		.amdhsa_group_segment_fixed_size 68
		.amdhsa_private_segment_fixed_size 0
		.amdhsa_kernarg_size 320
		.amdhsa_user_sgpr_count 2
		.amdhsa_user_sgpr_dispatch_ptr 0
		.amdhsa_user_sgpr_queue_ptr 0
		.amdhsa_user_sgpr_kernarg_segment_ptr 1
		.amdhsa_user_sgpr_dispatch_id 0
		.amdhsa_user_sgpr_private_segment_size 0
		.amdhsa_wavefront_size32 1
		.amdhsa_uses_dynamic_stack 0
		.amdhsa_enable_private_segment 0
		.amdhsa_system_sgpr_workgroup_id_x 1
		.amdhsa_system_sgpr_workgroup_id_y 0
		.amdhsa_system_sgpr_workgroup_id_z 0
		.amdhsa_system_sgpr_workgroup_info 0
		.amdhsa_system_vgpr_workitem_id 0
		.amdhsa_next_free_vgpr 12
		.amdhsa_next_free_sgpr 19
		.amdhsa_reserve_vcc 1
		.amdhsa_float_round_mode_32 0
		.amdhsa_float_round_mode_16_64 0
		.amdhsa_float_denorm_mode_32 3
		.amdhsa_float_denorm_mode_16_64 3
		.amdhsa_fp16_overflow 0
		.amdhsa_workgroup_processor_mode 1
		.amdhsa_memory_ordered 1
		.amdhsa_forward_progress 1
		.amdhsa_inst_pref_size 13
		.amdhsa_round_robin_scheduling 0
		.amdhsa_exception_fp_ieee_invalid_op 0
		.amdhsa_exception_fp_denorm_src 0
		.amdhsa_exception_fp_ieee_div_zero 0
		.amdhsa_exception_fp_ieee_overflow 0
		.amdhsa_exception_fp_ieee_underflow 0
		.amdhsa_exception_fp_ieee_inexact 0
		.amdhsa_exception_int_div_zero 0
	.end_amdhsa_kernel
	.section	.text._ZN4vllm42fused_add_rms_norm_static_fp8_quant_kernelIfLi0EN3c1013Float8_e4m3fnEEENSt9enable_ifIXooeqT0_Li0Entsr12_typeConvertIT_EE6existsEvE4typeEPT1_PS4_iS9_PKS4_PKffii,"axG",@progbits,_ZN4vllm42fused_add_rms_norm_static_fp8_quant_kernelIfLi0EN3c1013Float8_e4m3fnEEENSt9enable_ifIXooeqT0_Li0Entsr12_typeConvertIT_EE6existsEvE4typeEPT1_PS4_iS9_PKS4_PKffii,comdat
.Lfunc_end12:
	.size	_ZN4vllm42fused_add_rms_norm_static_fp8_quant_kernelIfLi0EN3c1013Float8_e4m3fnEEENSt9enable_ifIXooeqT0_Li0Entsr12_typeConvertIT_EE6existsEvE4typeEPT1_PS4_iS9_PKS4_PKffii, .Lfunc_end12-_ZN4vllm42fused_add_rms_norm_static_fp8_quant_kernelIfLi0EN3c1013Float8_e4m3fnEEENSt9enable_ifIXooeqT0_Li0Entsr12_typeConvertIT_EE6existsEvE4typeEPT1_PS4_iS9_PKS4_PKffii
                                        ; -- End function
	.set _ZN4vllm42fused_add_rms_norm_static_fp8_quant_kernelIfLi0EN3c1013Float8_e4m3fnEEENSt9enable_ifIXooeqT0_Li0Entsr12_typeConvertIT_EE6existsEvE4typeEPT1_PS4_iS9_PKS4_PKffii.num_vgpr, 12
	.set _ZN4vllm42fused_add_rms_norm_static_fp8_quant_kernelIfLi0EN3c1013Float8_e4m3fnEEENSt9enable_ifIXooeqT0_Li0Entsr12_typeConvertIT_EE6existsEvE4typeEPT1_PS4_iS9_PKS4_PKffii.num_agpr, 0
	.set _ZN4vllm42fused_add_rms_norm_static_fp8_quant_kernelIfLi0EN3c1013Float8_e4m3fnEEENSt9enable_ifIXooeqT0_Li0Entsr12_typeConvertIT_EE6existsEvE4typeEPT1_PS4_iS9_PKS4_PKffii.numbered_sgpr, 19
	.set _ZN4vllm42fused_add_rms_norm_static_fp8_quant_kernelIfLi0EN3c1013Float8_e4m3fnEEENSt9enable_ifIXooeqT0_Li0Entsr12_typeConvertIT_EE6existsEvE4typeEPT1_PS4_iS9_PKS4_PKffii.num_named_barrier, 0
	.set _ZN4vllm42fused_add_rms_norm_static_fp8_quant_kernelIfLi0EN3c1013Float8_e4m3fnEEENSt9enable_ifIXooeqT0_Li0Entsr12_typeConvertIT_EE6existsEvE4typeEPT1_PS4_iS9_PKS4_PKffii.private_seg_size, 0
	.set _ZN4vllm42fused_add_rms_norm_static_fp8_quant_kernelIfLi0EN3c1013Float8_e4m3fnEEENSt9enable_ifIXooeqT0_Li0Entsr12_typeConvertIT_EE6existsEvE4typeEPT1_PS4_iS9_PKS4_PKffii.uses_vcc, 1
	.set _ZN4vllm42fused_add_rms_norm_static_fp8_quant_kernelIfLi0EN3c1013Float8_e4m3fnEEENSt9enable_ifIXooeqT0_Li0Entsr12_typeConvertIT_EE6existsEvE4typeEPT1_PS4_iS9_PKS4_PKffii.uses_flat_scratch, 0
	.set _ZN4vllm42fused_add_rms_norm_static_fp8_quant_kernelIfLi0EN3c1013Float8_e4m3fnEEENSt9enable_ifIXooeqT0_Li0Entsr12_typeConvertIT_EE6existsEvE4typeEPT1_PS4_iS9_PKS4_PKffii.has_dyn_sized_stack, 0
	.set _ZN4vllm42fused_add_rms_norm_static_fp8_quant_kernelIfLi0EN3c1013Float8_e4m3fnEEENSt9enable_ifIXooeqT0_Li0Entsr12_typeConvertIT_EE6existsEvE4typeEPT1_PS4_iS9_PKS4_PKffii.has_recursion, 0
	.set _ZN4vllm42fused_add_rms_norm_static_fp8_quant_kernelIfLi0EN3c1013Float8_e4m3fnEEENSt9enable_ifIXooeqT0_Li0Entsr12_typeConvertIT_EE6existsEvE4typeEPT1_PS4_iS9_PKS4_PKffii.has_indirect_call, 0
	.section	.AMDGPU.csdata,"",@progbits
; Kernel info:
; codeLenInByte = 1660
; TotalNumSgprs: 21
; NumVgprs: 12
; ScratchSize: 0
; MemoryBound: 0
; FloatMode: 240
; IeeeMode: 1
; LDSByteSize: 68 bytes/workgroup (compile time only)
; SGPRBlocks: 0
; VGPRBlocks: 1
; NumSGPRsForWavesPerEU: 21
; NumVGPRsForWavesPerEU: 12
; Occupancy: 16
; WaveLimiterHint : 0
; COMPUTE_PGM_RSRC2:SCRATCH_EN: 0
; COMPUTE_PGM_RSRC2:USER_SGPR: 2
; COMPUTE_PGM_RSRC2:TRAP_HANDLER: 0
; COMPUTE_PGM_RSRC2:TGID_X_EN: 1
; COMPUTE_PGM_RSRC2:TGID_Y_EN: 0
; COMPUTE_PGM_RSRC2:TGID_Z_EN: 0
; COMPUTE_PGM_RSRC2:TIDIG_COMP_CNT: 0
	.section	.text._ZN4vllm42fused_add_rms_norm_static_fp8_quant_kernelIfLi0EN3c1015Float8_e4m3fnuzEEENSt9enable_ifIXooeqT0_Li0Entsr12_typeConvertIT_EE6existsEvE4typeEPT1_PS4_iS9_PKS4_PKffii,"axG",@progbits,_ZN4vllm42fused_add_rms_norm_static_fp8_quant_kernelIfLi0EN3c1015Float8_e4m3fnuzEEENSt9enable_ifIXooeqT0_Li0Entsr12_typeConvertIT_EE6existsEvE4typeEPT1_PS4_iS9_PKS4_PKffii,comdat
	.protected	_ZN4vllm42fused_add_rms_norm_static_fp8_quant_kernelIfLi0EN3c1015Float8_e4m3fnuzEEENSt9enable_ifIXooeqT0_Li0Entsr12_typeConvertIT_EE6existsEvE4typeEPT1_PS4_iS9_PKS4_PKffii ; -- Begin function _ZN4vllm42fused_add_rms_norm_static_fp8_quant_kernelIfLi0EN3c1015Float8_e4m3fnuzEEENSt9enable_ifIXooeqT0_Li0Entsr12_typeConvertIT_EE6existsEvE4typeEPT1_PS4_iS9_PKS4_PKffii
	.globl	_ZN4vllm42fused_add_rms_norm_static_fp8_quant_kernelIfLi0EN3c1015Float8_e4m3fnuzEEENSt9enable_ifIXooeqT0_Li0Entsr12_typeConvertIT_EE6existsEvE4typeEPT1_PS4_iS9_PKS4_PKffii
	.p2align	8
	.type	_ZN4vllm42fused_add_rms_norm_static_fp8_quant_kernelIfLi0EN3c1015Float8_e4m3fnuzEEENSt9enable_ifIXooeqT0_Li0Entsr12_typeConvertIT_EE6existsEvE4typeEPT1_PS4_iS9_PKS4_PKffii,@function
_ZN4vllm42fused_add_rms_norm_static_fp8_quant_kernelIfLi0EN3c1015Float8_e4m3fnuzEEENSt9enable_ifIXooeqT0_Li0Entsr12_typeConvertIT_EE6existsEvE4typeEPT1_PS4_iS9_PKS4_PKffii: ; @_ZN4vllm42fused_add_rms_norm_static_fp8_quant_kernelIfLi0EN3c1015Float8_e4m3fnuzEEENSt9enable_ifIXooeqT0_Li0Entsr12_typeConvertIT_EE6existsEvE4typeEPT1_PS4_iS9_PKS4_PKffii
; %bb.0:
	s_load_b32 s7, s[0:1], 0x38
	s_mov_b32 s3, exec_lo
                                        ; implicit-def: $sgpr4
	s_wait_kmcnt 0x0
	v_cmp_gt_i32_e64 s2, s7, v0
	v_cmpx_le_i32_e64 s7, v0
	s_xor_b32 s3, exec_lo, s3
	s_cbranch_execz .LBB13_2
; %bb.1:
	s_load_b32 s4, s[0:1], 0x4c
	s_wait_kmcnt 0x0
	s_and_b32 s4, s4, 0xffff
.LBB13_2:
	s_or_saveexec_b32 s3, s3
	v_dual_mov_b32 v3, 0 :: v_dual_mov_b32 v2, s4
	s_xor_b32 exec_lo, exec_lo, s3
	s_cbranch_execz .LBB13_6
; %bb.3:
	s_clause 0x2
	s_load_b96 s[4:6], s[0:1], 0x8
	s_load_b32 s12, s[0:1], 0x4c
	s_load_b64 s[8:9], s[0:1], 0x18
	v_dual_mov_b32 v2, 0 :: v_dual_mov_b32 v3, 0
	v_mov_b32_e32 v4, v0
	s_mul_i32 s10, s7, ttmp9
	s_wait_kmcnt 0x0
	s_mul_i32 s11, s6, ttmp9
	s_and_b32 s6, s12, 0xffff
	s_mov_b32 s12, 0
.LBB13_4:                               ; =>This Inner Loop Header: Depth=1
	v_add_nc_u32_e32 v1, s11, v4
	s_delay_alu instid0(VALU_DEP_1) | instskip(SKIP_1) | instid1(VALU_DEP_1)
	v_lshlrev_b64_e32 v[5:6], 2, v[1:2]
	v_add_nc_u32_e32 v1, s10, v4
	v_lshlrev_b64_e32 v[7:8], 2, v[1:2]
	s_delay_alu instid0(VALU_DEP_3) | instskip(SKIP_1) | instid1(VALU_DEP_4)
	v_add_co_u32 v5, vcc_lo, s4, v5
	s_wait_alu 0xfffd
	v_add_co_ci_u32_e64 v6, null, s5, v6, vcc_lo
	s_delay_alu instid0(VALU_DEP_3)
	v_add_co_u32 v7, vcc_lo, s8, v7
	s_wait_alu 0xfffd
	v_add_co_ci_u32_e64 v8, null, s9, v8, vcc_lo
	global_load_b32 v1, v[5:6], off
	global_load_b32 v5, v[7:8], off
	s_wait_loadcnt 0x0
	s_wait_alu 0xfffe
	v_dual_add_f32 v1, v1, v5 :: v_dual_add_nc_u32 v4, s6, v4
	s_delay_alu instid0(VALU_DEP_1) | instskip(NEXT) | instid1(VALU_DEP_2)
	v_cmp_le_i32_e32 vcc_lo, s7, v4
	v_fmac_f32_e32 v3, v1, v1
	s_or_b32 s12, vcc_lo, s12
	global_store_b32 v[7:8], v1, off
	s_and_not1_b32 exec_lo, exec_lo, s12
	s_cbranch_execnz .LBB13_4
; %bb.5:
	s_or_b32 exec_lo, exec_lo, s12
	v_mov_b32_e32 v2, s6
.LBB13_6:
	s_or_b32 exec_lo, exec_lo, s3
	v_mbcnt_lo_u32_b32 v1, -1, 0
	v_and_b32_e32 v5, 0x3c0, v0
	s_mov_b32 s3, exec_lo
	s_delay_alu instid0(VALU_DEP_2) | instskip(NEXT) | instid1(VALU_DEP_2)
	v_cmp_ne_u32_e32 vcc_lo, 63, v1
	v_sub_nc_u32_e64 v5, v2, v5 clamp
	s_wait_alu 0xfffd
	v_add_co_ci_u32_e64 v4, null, 0, v1, vcc_lo
	v_cmp_gt_u32_e32 vcc_lo, 62, v1
	s_delay_alu instid0(VALU_DEP_2)
	v_lshlrev_b32_e32 v4, 2, v4
	s_wait_alu 0xfffd
	v_cndmask_b32_e64 v6, 0, 2, vcc_lo
	ds_bpermute_b32 v4, v4, v3
	v_add_nc_u32_e32 v7, 1, v1
	v_add_lshl_u32 v6, v6, v1, 2
	s_wait_dscnt 0x0
	v_add_f32_e32 v4, v3, v4
	s_delay_alu instid0(VALU_DEP_3) | instskip(SKIP_1) | instid1(VALU_DEP_2)
	v_cmp_lt_u32_e32 vcc_lo, v7, v5
	s_wait_alu 0xfffd
	v_cndmask_b32_e32 v3, v3, v4, vcc_lo
	v_cmp_gt_u32_e32 vcc_lo, 60, v1
	ds_bpermute_b32 v4, v6, v3
	v_add_nc_u32_e32 v7, 2, v1
	s_wait_alu 0xfffd
	v_cndmask_b32_e64 v6, 0, 4, vcc_lo
	s_delay_alu instid0(VALU_DEP_1) | instskip(SKIP_4) | instid1(VALU_DEP_2)
	v_add_lshl_u32 v6, v6, v1, 2
	s_wait_dscnt 0x0
	v_add_f32_e32 v4, v3, v4
	v_cmp_lt_u32_e32 vcc_lo, v7, v5
	s_wait_alu 0xfffd
	v_cndmask_b32_e32 v3, v3, v4, vcc_lo
	v_cmp_gt_u32_e32 vcc_lo, 56, v1
	ds_bpermute_b32 v4, v6, v3
	v_add_nc_u32_e32 v7, 4, v1
	s_wait_alu 0xfffd
	v_cndmask_b32_e64 v6, 0, 8, vcc_lo
	s_delay_alu instid0(VALU_DEP_1) | instskip(SKIP_4) | instid1(VALU_DEP_2)
	v_add_lshl_u32 v6, v6, v1, 2
	s_wait_dscnt 0x0
	v_add_f32_e32 v4, v3, v4
	;; [unrolled: 12-line block ×3, first 2 shown]
	v_cmp_lt_u32_e32 vcc_lo, v7, v5
	s_wait_alu 0xfffd
	v_cndmask_b32_e32 v4, v3, v4, vcc_lo
	ds_bpermute_b32 v3, v6, v4
	v_add_nc_u32_e32 v6, 16, v1
	s_delay_alu instid0(VALU_DEP_1) | instskip(SKIP_3) | instid1(VALU_DEP_1)
	v_cmp_lt_u32_e32 vcc_lo, v6, v5
	s_wait_dscnt 0x0
	v_add_f32_e32 v7, v4, v3
	s_wait_alu 0xfffd
	v_dual_cndmask_b32 v4, v4, v7 :: v_dual_lshlrev_b32 v3, 2, v1
	v_or_b32_e32 v7, 32, v1
	ds_bpermute_b32 v6, v3, v4 offset:128
	v_cmp_lt_u32_e32 vcc_lo, v7, v5
	s_wait_dscnt 0x0
	v_add_f32_e32 v6, v4, v6
	s_wait_alu 0xfffd
	s_delay_alu instid0(VALU_DEP_1)
	v_cndmask_b32_e32 v4, v4, v6, vcc_lo
	v_cmpx_eq_u32_e32 0, v1
; %bb.7:
	v_lshrrev_b32_e32 v5, 4, v0
	s_delay_alu instid0(VALU_DEP_1)
	v_and_b32_e32 v5, 60, v5
	ds_store_b32 v5, v4
; %bb.8:
	s_or_b32 exec_lo, exec_lo, s3
	s_delay_alu instid0(SALU_CYCLE_1)
	s_mov_b32 s4, exec_lo
	s_wait_storecnt_dscnt 0x0
	s_barrier_signal -1
	s_barrier_wait -1
	global_inv scope:SCOPE_SE
	v_cmpx_gt_u32_e32 16, v0
	s_cbranch_execz .LBB13_10
; %bb.9:
	ds_load_b32 v4, v3
	v_and_b32_e32 v5, 15, v1
	v_add_nc_u32_e32 v2, 63, v2
	v_or_b32_e32 v3, 32, v3
	s_delay_alu instid0(VALU_DEP_3) | instskip(NEXT) | instid1(VALU_DEP_3)
	v_cmp_ne_u32_e32 vcc_lo, 15, v5
	v_lshrrev_b32_e32 v2, 6, v2
	s_wait_alu 0xfffd
	v_add_co_ci_u32_e64 v6, null, 0, v1, vcc_lo
	s_delay_alu instid0(VALU_DEP_1)
	v_lshlrev_b32_e32 v6, 2, v6
	s_wait_dscnt 0x0
	ds_bpermute_b32 v6, v6, v4
	s_wait_dscnt 0x0
	v_add_f32_e32 v6, v4, v6
	v_cmp_gt_u32_e32 vcc_lo, 14, v5
	v_add_nc_u32_e32 v8, 1, v5
	v_cmp_gt_u32_e64 s3, 12, v5
	v_add_nc_u32_e32 v9, 2, v5
	s_wait_alu 0xfffd
	v_cndmask_b32_e64 v7, 0, 2, vcc_lo
	v_cmp_lt_u32_e32 vcc_lo, v8, v2
	v_cndmask_b32_e64 v8, 0, 4, s3
	v_cmp_lt_u32_e64 s3, v9, v2
	s_delay_alu instid0(VALU_DEP_4)
	v_add_lshl_u32 v7, v7, v1, 2
	s_wait_alu 0xfffd
	v_cndmask_b32_e32 v6, v4, v6, vcc_lo
	v_add_lshl_u32 v1, v8, v1, 2
	ds_bpermute_b32 v7, v7, v6
	s_wait_dscnt 0x0
	v_add_f32_e32 v7, v6, v7
	s_wait_alu 0xf1ff
	s_delay_alu instid0(VALU_DEP_1)
	v_cndmask_b32_e64 v6, v6, v7, s3
	v_add_nc_u32_e32 v7, 4, v5
	v_add_nc_u32_e32 v5, 8, v5
	ds_bpermute_b32 v1, v1, v6
	v_cmp_lt_u32_e64 s3, v7, v2
	s_wait_dscnt 0x0
	v_add_f32_e32 v1, v6, v1
	s_wait_alu 0xf1ff
	s_delay_alu instid0(VALU_DEP_1)
	v_cndmask_b32_e64 v1, v6, v1, s3
	v_cmp_lt_u32_e64 s3, v5, v2
	ds_bpermute_b32 v3, v3, v1
	s_wait_dscnt 0x0
	v_add_f32_e32 v3, v1, v3
	s_wait_alu 0xf1ff
	s_delay_alu instid0(VALU_DEP_1) | instskip(NEXT) | instid1(VALU_DEP_1)
	v_cndmask_b32_e64 v1, v1, v3, s3
	v_cndmask_b32_e32 v4, v4, v1, vcc_lo
.LBB13_10:
	s_wait_alu 0xfffe
	s_or_b32 exec_lo, exec_lo, s4
	s_delay_alu instid0(SALU_CYCLE_1)
	s_mov_b32 s3, exec_lo
	v_cmpx_eq_u32_e32 0, v0
	s_cbranch_execz .LBB13_12
; %bb.11:
	s_cvt_f32_i32 s4, s7
	s_load_b32 s0, s[0:1], 0x30
	s_delay_alu instid0(SALU_CYCLE_2) | instskip(SKIP_1) | instid1(VALU_DEP_2)
	v_div_scale_f32 v0, null, s4, s4, v4
	v_div_scale_f32 v3, vcc_lo, v4, s4, v4
	v_rcp_f32_e32 v1, v0
	s_delay_alu instid0(TRANS32_DEP_1) | instskip(NEXT) | instid1(VALU_DEP_1)
	v_fma_f32 v2, -v0, v1, 1.0
	v_fmac_f32_e32 v1, v2, v1
	s_delay_alu instid0(VALU_DEP_1) | instskip(NEXT) | instid1(VALU_DEP_1)
	v_mul_f32_e32 v2, v3, v1
	v_fma_f32 v5, -v0, v2, v3
	s_delay_alu instid0(VALU_DEP_1) | instskip(NEXT) | instid1(VALU_DEP_1)
	v_fmac_f32_e32 v2, v5, v1
	v_fma_f32 v0, -v0, v2, v3
	s_wait_alu 0xfffd
	s_delay_alu instid0(VALU_DEP_1) | instskip(NEXT) | instid1(VALU_DEP_1)
	v_div_fmas_f32 v0, v0, v1, v2
	v_div_fixup_f32 v0, v0, s4, v4
	s_wait_kmcnt 0x0
	s_delay_alu instid0(VALU_DEP_1) | instskip(NEXT) | instid1(VALU_DEP_1)
	v_add_f32_e32 v0, s0, v0
	v_mul_f32_e32 v1, 0x4b800000, v0
	v_cmp_gt_f32_e32 vcc_lo, 0x800000, v0
	s_wait_alu 0xfffd
	s_delay_alu instid0(VALU_DEP_2) | instskip(NEXT) | instid1(VALU_DEP_1)
	v_cndmask_b32_e32 v0, v0, v1, vcc_lo
	v_rsq_f32_e32 v0, v0
	s_delay_alu instid0(TRANS32_DEP_1) | instskip(NEXT) | instid1(VALU_DEP_1)
	v_mul_f32_e32 v1, 0x45800000, v0
	v_dual_cndmask_b32 v0, v0, v1 :: v_dual_mov_b32 v1, 0
	ds_store_b32 v1, v0 offset:64
.LBB13_12:
	s_wait_alu 0xfffe
	s_or_b32 exec_lo, exec_lo, s3
	s_wait_loadcnt_dscnt 0x0
	s_barrier_signal -1
	s_barrier_wait -1
	global_inv scope:SCOPE_SE
	s_and_saveexec_b32 s0, s2
	s_cbranch_execnz .LBB13_14
; %bb.13:
	s_endpgm
.LBB13_14:
	s_trap 2
	; divergent unreachable
	s_endpgm
	.section	.rodata,"a",@progbits
	.p2align	6, 0x0
	.amdhsa_kernel _ZN4vllm42fused_add_rms_norm_static_fp8_quant_kernelIfLi0EN3c1015Float8_e4m3fnuzEEENSt9enable_ifIXooeqT0_Li0Entsr12_typeConvertIT_EE6existsEvE4typeEPT1_PS4_iS9_PKS4_PKffii
		.amdhsa_group_segment_fixed_size 68
		.amdhsa_private_segment_fixed_size 0
		.amdhsa_kernarg_size 320
		.amdhsa_user_sgpr_count 2
		.amdhsa_user_sgpr_dispatch_ptr 0
		.amdhsa_user_sgpr_queue_ptr 0
		.amdhsa_user_sgpr_kernarg_segment_ptr 1
		.amdhsa_user_sgpr_dispatch_id 0
		.amdhsa_user_sgpr_private_segment_size 0
		.amdhsa_wavefront_size32 1
		.amdhsa_uses_dynamic_stack 0
		.amdhsa_enable_private_segment 0
		.amdhsa_system_sgpr_workgroup_id_x 1
		.amdhsa_system_sgpr_workgroup_id_y 0
		.amdhsa_system_sgpr_workgroup_id_z 0
		.amdhsa_system_sgpr_workgroup_info 0
		.amdhsa_system_vgpr_workitem_id 0
		.amdhsa_next_free_vgpr 10
		.amdhsa_next_free_sgpr 13
		.amdhsa_reserve_vcc 1
		.amdhsa_float_round_mode_32 0
		.amdhsa_float_round_mode_16_64 0
		.amdhsa_float_denorm_mode_32 3
		.amdhsa_float_denorm_mode_16_64 3
		.amdhsa_fp16_overflow 0
		.amdhsa_workgroup_processor_mode 1
		.amdhsa_memory_ordered 1
		.amdhsa_forward_progress 1
		.amdhsa_inst_pref_size 10
		.amdhsa_round_robin_scheduling 0
		.amdhsa_exception_fp_ieee_invalid_op 0
		.amdhsa_exception_fp_denorm_src 0
		.amdhsa_exception_fp_ieee_div_zero 0
		.amdhsa_exception_fp_ieee_overflow 0
		.amdhsa_exception_fp_ieee_underflow 0
		.amdhsa_exception_fp_ieee_inexact 0
		.amdhsa_exception_int_div_zero 0
	.end_amdhsa_kernel
	.section	.text._ZN4vllm42fused_add_rms_norm_static_fp8_quant_kernelIfLi0EN3c1015Float8_e4m3fnuzEEENSt9enable_ifIXooeqT0_Li0Entsr12_typeConvertIT_EE6existsEvE4typeEPT1_PS4_iS9_PKS4_PKffii,"axG",@progbits,_ZN4vllm42fused_add_rms_norm_static_fp8_quant_kernelIfLi0EN3c1015Float8_e4m3fnuzEEENSt9enable_ifIXooeqT0_Li0Entsr12_typeConvertIT_EE6existsEvE4typeEPT1_PS4_iS9_PKS4_PKffii,comdat
.Lfunc_end13:
	.size	_ZN4vllm42fused_add_rms_norm_static_fp8_quant_kernelIfLi0EN3c1015Float8_e4m3fnuzEEENSt9enable_ifIXooeqT0_Li0Entsr12_typeConvertIT_EE6existsEvE4typeEPT1_PS4_iS9_PKS4_PKffii, .Lfunc_end13-_ZN4vllm42fused_add_rms_norm_static_fp8_quant_kernelIfLi0EN3c1015Float8_e4m3fnuzEEENSt9enable_ifIXooeqT0_Li0Entsr12_typeConvertIT_EE6existsEvE4typeEPT1_PS4_iS9_PKS4_PKffii
                                        ; -- End function
	.set _ZN4vllm42fused_add_rms_norm_static_fp8_quant_kernelIfLi0EN3c1015Float8_e4m3fnuzEEENSt9enable_ifIXooeqT0_Li0Entsr12_typeConvertIT_EE6existsEvE4typeEPT1_PS4_iS9_PKS4_PKffii.num_vgpr, 10
	.set _ZN4vllm42fused_add_rms_norm_static_fp8_quant_kernelIfLi0EN3c1015Float8_e4m3fnuzEEENSt9enable_ifIXooeqT0_Li0Entsr12_typeConvertIT_EE6existsEvE4typeEPT1_PS4_iS9_PKS4_PKffii.num_agpr, 0
	.set _ZN4vllm42fused_add_rms_norm_static_fp8_quant_kernelIfLi0EN3c1015Float8_e4m3fnuzEEENSt9enable_ifIXooeqT0_Li0Entsr12_typeConvertIT_EE6existsEvE4typeEPT1_PS4_iS9_PKS4_PKffii.numbered_sgpr, 13
	.set _ZN4vllm42fused_add_rms_norm_static_fp8_quant_kernelIfLi0EN3c1015Float8_e4m3fnuzEEENSt9enable_ifIXooeqT0_Li0Entsr12_typeConvertIT_EE6existsEvE4typeEPT1_PS4_iS9_PKS4_PKffii.num_named_barrier, 0
	.set _ZN4vllm42fused_add_rms_norm_static_fp8_quant_kernelIfLi0EN3c1015Float8_e4m3fnuzEEENSt9enable_ifIXooeqT0_Li0Entsr12_typeConvertIT_EE6existsEvE4typeEPT1_PS4_iS9_PKS4_PKffii.private_seg_size, 0
	.set _ZN4vllm42fused_add_rms_norm_static_fp8_quant_kernelIfLi0EN3c1015Float8_e4m3fnuzEEENSt9enable_ifIXooeqT0_Li0Entsr12_typeConvertIT_EE6existsEvE4typeEPT1_PS4_iS9_PKS4_PKffii.uses_vcc, 1
	.set _ZN4vllm42fused_add_rms_norm_static_fp8_quant_kernelIfLi0EN3c1015Float8_e4m3fnuzEEENSt9enable_ifIXooeqT0_Li0Entsr12_typeConvertIT_EE6existsEvE4typeEPT1_PS4_iS9_PKS4_PKffii.uses_flat_scratch, 0
	.set _ZN4vllm42fused_add_rms_norm_static_fp8_quant_kernelIfLi0EN3c1015Float8_e4m3fnuzEEENSt9enable_ifIXooeqT0_Li0Entsr12_typeConvertIT_EE6existsEvE4typeEPT1_PS4_iS9_PKS4_PKffii.has_dyn_sized_stack, 0
	.set _ZN4vllm42fused_add_rms_norm_static_fp8_quant_kernelIfLi0EN3c1015Float8_e4m3fnuzEEENSt9enable_ifIXooeqT0_Li0Entsr12_typeConvertIT_EE6existsEvE4typeEPT1_PS4_iS9_PKS4_PKffii.has_recursion, 0
	.set _ZN4vllm42fused_add_rms_norm_static_fp8_quant_kernelIfLi0EN3c1015Float8_e4m3fnuzEEENSt9enable_ifIXooeqT0_Li0Entsr12_typeConvertIT_EE6existsEvE4typeEPT1_PS4_iS9_PKS4_PKffii.has_indirect_call, 0
	.section	.AMDGPU.csdata,"",@progbits
; Kernel info:
; codeLenInByte = 1272
; TotalNumSgprs: 15
; NumVgprs: 10
; ScratchSize: 0
; MemoryBound: 0
; FloatMode: 240
; IeeeMode: 1
; LDSByteSize: 68 bytes/workgroup (compile time only)
; SGPRBlocks: 0
; VGPRBlocks: 1
; NumSGPRsForWavesPerEU: 15
; NumVGPRsForWavesPerEU: 10
; Occupancy: 16
; WaveLimiterHint : 0
; COMPUTE_PGM_RSRC2:SCRATCH_EN: 0
; COMPUTE_PGM_RSRC2:USER_SGPR: 2
; COMPUTE_PGM_RSRC2:TRAP_HANDLER: 0
; COMPUTE_PGM_RSRC2:TGID_X_EN: 1
; COMPUTE_PGM_RSRC2:TGID_Y_EN: 0
; COMPUTE_PGM_RSRC2:TGID_Z_EN: 0
; COMPUTE_PGM_RSRC2:TIDIG_COMP_CNT: 0
	.section	.text._ZN4vllm42fused_add_rms_norm_static_fp8_quant_kernelIN3c104HalfELi0ENS1_13Float8_e4m3fnEEENSt9enable_ifIXooeqT0_Li0Entsr12_typeConvertIT_EE6existsEvE4typeEPT1_PS5_iSA_PKS5_PKffii,"axG",@progbits,_ZN4vllm42fused_add_rms_norm_static_fp8_quant_kernelIN3c104HalfELi0ENS1_13Float8_e4m3fnEEENSt9enable_ifIXooeqT0_Li0Entsr12_typeConvertIT_EE6existsEvE4typeEPT1_PS5_iSA_PKS5_PKffii,comdat
	.protected	_ZN4vllm42fused_add_rms_norm_static_fp8_quant_kernelIN3c104HalfELi0ENS1_13Float8_e4m3fnEEENSt9enable_ifIXooeqT0_Li0Entsr12_typeConvertIT_EE6existsEvE4typeEPT1_PS5_iSA_PKS5_PKffii ; -- Begin function _ZN4vllm42fused_add_rms_norm_static_fp8_quant_kernelIN3c104HalfELi0ENS1_13Float8_e4m3fnEEENSt9enable_ifIXooeqT0_Li0Entsr12_typeConvertIT_EE6existsEvE4typeEPT1_PS5_iSA_PKS5_PKffii
	.globl	_ZN4vllm42fused_add_rms_norm_static_fp8_quant_kernelIN3c104HalfELi0ENS1_13Float8_e4m3fnEEENSt9enable_ifIXooeqT0_Li0Entsr12_typeConvertIT_EE6existsEvE4typeEPT1_PS5_iSA_PKS5_PKffii
	.p2align	8
	.type	_ZN4vllm42fused_add_rms_norm_static_fp8_quant_kernelIN3c104HalfELi0ENS1_13Float8_e4m3fnEEENSt9enable_ifIXooeqT0_Li0Entsr12_typeConvertIT_EE6existsEvE4typeEPT1_PS5_iSA_PKS5_PKffii,@function
_ZN4vllm42fused_add_rms_norm_static_fp8_quant_kernelIN3c104HalfELi0ENS1_13Float8_e4m3fnEEENSt9enable_ifIXooeqT0_Li0Entsr12_typeConvertIT_EE6existsEvE4typeEPT1_PS5_iSA_PKS5_PKffii: ; @_ZN4vllm42fused_add_rms_norm_static_fp8_quant_kernelIN3c104HalfELi0ENS1_13Float8_e4m3fnEEENSt9enable_ifIXooeqT0_Li0Entsr12_typeConvertIT_EE6existsEvE4typeEPT1_PS5_iSA_PKS5_PKffii
; %bb.0:
	s_clause 0x1
	s_load_b32 s11, s[0:1], 0x38
	s_load_b64 s[12:13], s[0:1], 0x18
	s_mov_b32 s3, exec_lo
                                        ; implicit-def: $sgpr8
                                        ; implicit-def: $sgpr9
	s_wait_kmcnt 0x0
	v_cmp_gt_i32_e64 s2, s11, v0
	v_cmpx_le_i32_e64 s11, v0
	s_xor_b32 s3, exec_lo, s3
	s_cbranch_execz .LBB14_2
; %bb.1:
	s_load_b32 s4, s[0:1], 0x4c
	s_mov_b32 s8, ttmp9
	s_wait_kmcnt 0x0
	s_and_b32 s9, s4, 0xffff
.LBB14_2:
	s_or_saveexec_b32 s3, s3
	s_clause 0x1
	s_load_b64 s[14:15], s[0:1], 0x0
	s_load_b128 s[4:7], s[0:1], 0x20
	v_dual_mov_b32 v3, 0 :: v_dual_mov_b32 v4, s9
	v_mov_b32_e32 v1, s8
	s_xor_b32 exec_lo, exec_lo, s3
	s_cbranch_execz .LBB14_6
; %bb.3:
	s_clause 0x1
	s_load_b96 s[8:10], s[0:1], 0x8
	s_load_b32 s18, s[0:1], 0x4c
	v_dual_mov_b32 v2, 0 :: v_dual_mov_b32 v3, 0
	v_mov_b32_e32 v4, v0
	s_mul_i32 s16, s11, ttmp9
	s_wait_kmcnt 0x0
	s_mul_i32 s17, s10, ttmp9
	s_and_b32 s10, s18, 0xffff
	s_mov_b32 s18, 0
.LBB14_4:                               ; =>This Inner Loop Header: Depth=1
	v_add_nc_u32_e32 v1, s17, v4
	s_delay_alu instid0(VALU_DEP_1) | instskip(SKIP_3) | instid1(VALU_DEP_2)
	v_lshlrev_b64_e32 v[5:6], 1, v[1:2]
	v_add_nc_u32_e32 v1, s16, v4
	s_wait_alu 0xfffe
	v_add_nc_u32_e32 v4, s10, v4
	v_lshlrev_b64_e32 v[7:8], 1, v[1:2]
	s_delay_alu instid0(VALU_DEP_4) | instskip(SKIP_2) | instid1(VALU_DEP_3)
	v_add_co_u32 v5, vcc_lo, s8, v5
	s_wait_alu 0xfffd
	v_add_co_ci_u32_e64 v6, null, s9, v6, vcc_lo
	v_add_co_u32 v7, vcc_lo, s12, v7
	s_wait_alu 0xfffd
	v_add_co_ci_u32_e64 v8, null, s13, v8, vcc_lo
	v_cmp_le_i32_e32 vcc_lo, s11, v4
	global_load_u16 v1, v[5:6], off
	global_load_u16 v5, v[7:8], off
	s_or_b32 s18, vcc_lo, s18
	s_wait_loadcnt 0x0
	v_add_f16_e32 v1, v1, v5
	s_delay_alu instid0(VALU_DEP_1)
	v_fma_mix_f32 v3, v1, v1, v3 op_sel_hi:[1,1,0]
	global_store_b16 v[7:8], v1, off
	s_and_not1_b32 exec_lo, exec_lo, s18
	s_cbranch_execnz .LBB14_4
; %bb.5:
	s_or_b32 exec_lo, exec_lo, s18
	v_dual_mov_b32 v1, ttmp9 :: v_dual_mov_b32 v4, s10
.LBB14_6:
	s_or_b32 exec_lo, exec_lo, s3
	v_mbcnt_lo_u32_b32 v2, -1, 0
	s_mov_b32 s3, exec_lo
	s_delay_alu instid0(VALU_DEP_1) | instskip(SKIP_3) | instid1(VALU_DEP_2)
	v_cmp_ne_u32_e32 vcc_lo, 63, v2
	s_wait_alu 0xfffd
	v_add_co_ci_u32_e64 v5, null, 0, v2, vcc_lo
	v_cmp_gt_u32_e32 vcc_lo, 62, v2
	v_lshlrev_b32_e32 v5, 2, v5
	s_wait_alu 0xfffd
	v_cndmask_b32_e64 v7, 0, 2, vcc_lo
	ds_bpermute_b32 v5, v5, v3
	v_and_b32_e32 v6, 0x3c0, v0
	v_add_lshl_u32 v7, v7, v2, 2
	s_wait_dscnt 0x0
	v_add_f32_e32 v5, v3, v5
	s_delay_alu instid0(VALU_DEP_3) | instskip(SKIP_1) | instid1(VALU_DEP_1)
	v_sub_nc_u32_e64 v6, v4, v6 clamp
	v_add_nc_u32_e32 v8, 1, v2
	v_cmp_lt_u32_e32 vcc_lo, v8, v6
	s_wait_alu 0xfffd
	v_cndmask_b32_e32 v3, v3, v5, vcc_lo
	v_cmp_gt_u32_e32 vcc_lo, 60, v2
	ds_bpermute_b32 v5, v7, v3
	v_add_nc_u32_e32 v8, 2, v2
	s_wait_alu 0xfffd
	v_cndmask_b32_e64 v7, 0, 4, vcc_lo
	s_delay_alu instid0(VALU_DEP_1) | instskip(SKIP_4) | instid1(VALU_DEP_2)
	v_add_lshl_u32 v7, v7, v2, 2
	s_wait_dscnt 0x0
	v_add_f32_e32 v5, v3, v5
	v_cmp_lt_u32_e32 vcc_lo, v8, v6
	s_wait_alu 0xfffd
	v_dual_cndmask_b32 v3, v3, v5 :: v_dual_add_nc_u32 v8, 4, v2
	v_cmp_gt_u32_e32 vcc_lo, 56, v2
	ds_bpermute_b32 v5, v7, v3
	s_wait_alu 0xfffd
	v_cndmask_b32_e64 v7, 0, 8, vcc_lo
	v_cmp_lt_u32_e32 vcc_lo, v8, v6
	v_add_nc_u32_e32 v8, 8, v2
	s_delay_alu instid0(VALU_DEP_3) | instskip(SKIP_3) | instid1(VALU_DEP_1)
	v_add_lshl_u32 v7, v7, v2, 2
	s_wait_dscnt 0x0
	v_add_f32_e32 v5, v3, v5
	s_wait_alu 0xfffd
	v_cndmask_b32_e32 v3, v3, v5, vcc_lo
	v_cmp_gt_u32_e32 vcc_lo, 48, v2
	ds_bpermute_b32 v5, v7, v3
	s_wait_alu 0xfffd
	v_cndmask_b32_e64 v7, 0, 16, vcc_lo
	v_cmp_lt_u32_e32 vcc_lo, v8, v6
	s_delay_alu instid0(VALU_DEP_2) | instskip(SKIP_3) | instid1(VALU_DEP_1)
	v_add_lshl_u32 v7, v7, v2, 2
	s_wait_dscnt 0x0
	v_add_f32_e32 v5, v3, v5
	s_wait_alu 0xfffd
	v_cndmask_b32_e32 v5, v3, v5, vcc_lo
	ds_bpermute_b32 v3, v7, v5
	s_wait_dscnt 0x0
	v_dual_add_f32 v8, v5, v3 :: v_dual_add_nc_u32 v7, 16, v2
	s_delay_alu instid0(VALU_DEP_1) | instskip(SKIP_2) | instid1(VALU_DEP_3)
	v_cmp_lt_u32_e32 vcc_lo, v7, v6
	v_lshlrev_b32_e32 v3, 2, v2
	s_wait_alu 0xfffd
	v_cndmask_b32_e32 v5, v5, v8, vcc_lo
	v_or_b32_e32 v8, 32, v2
	ds_bpermute_b32 v7, v3, v5 offset:128
	v_cmp_lt_u32_e32 vcc_lo, v8, v6
	s_wait_dscnt 0x0
	v_add_f32_e32 v7, v5, v7
	s_wait_alu 0xfffd
	s_delay_alu instid0(VALU_DEP_1)
	v_cndmask_b32_e32 v5, v5, v7, vcc_lo
	v_cmpx_eq_u32_e32 0, v2
; %bb.7:
	v_lshrrev_b32_e32 v6, 4, v0
	s_delay_alu instid0(VALU_DEP_1)
	v_and_b32_e32 v6, 60, v6
	ds_store_b32 v6, v5
; %bb.8:
	s_or_b32 exec_lo, exec_lo, s3
	s_delay_alu instid0(SALU_CYCLE_1)
	s_mov_b32 s8, exec_lo
	s_wait_storecnt_dscnt 0x0
	s_barrier_signal -1
	s_barrier_wait -1
	global_inv scope:SCOPE_SE
	v_cmpx_gt_u32_e32 16, v0
	s_cbranch_execz .LBB14_10
; %bb.9:
	ds_load_b32 v5, v3
	v_and_b32_e32 v6, 15, v2
	v_or_b32_e32 v3, 32, v3
	s_delay_alu instid0(VALU_DEP_2) | instskip(SKIP_2) | instid1(VALU_DEP_1)
	v_cmp_ne_u32_e32 vcc_lo, 15, v6
	s_wait_alu 0xfffd
	v_add_co_ci_u32_e64 v7, null, 0, v2, vcc_lo
	v_lshlrev_b32_e32 v7, 2, v7
	s_wait_dscnt 0x0
	ds_bpermute_b32 v7, v7, v5
	s_wait_dscnt 0x0
	v_dual_add_f32 v7, v5, v7 :: v_dual_add_nc_u32 v8, 63, v4
	v_cmp_gt_u32_e32 vcc_lo, 14, v6
	v_add_nc_u32_e32 v10, 1, v6
	v_cmp_gt_u32_e64 s3, 12, v6
	v_add_nc_u32_e32 v11, 2, v6
	v_lshrrev_b32_e32 v8, 6, v8
	s_wait_alu 0xfffd
	v_cndmask_b32_e64 v9, 0, 2, vcc_lo
	s_delay_alu instid0(VALU_DEP_2) | instskip(NEXT) | instid1(VALU_DEP_2)
	v_cmp_lt_u32_e32 vcc_lo, v10, v8
	v_add_lshl_u32 v9, v9, v2, 2
	v_cndmask_b32_e64 v10, 0, 4, s3
	v_cmp_lt_u32_e64 s3, v11, v8
	s_wait_alu 0xfffd
	v_cndmask_b32_e32 v7, v5, v7, vcc_lo
	s_delay_alu instid0(VALU_DEP_3) | instskip(SKIP_4) | instid1(VALU_DEP_1)
	v_add_lshl_u32 v2, v10, v2, 2
	ds_bpermute_b32 v9, v9, v7
	s_wait_dscnt 0x0
	v_add_f32_e32 v9, v7, v9
	s_wait_alu 0xf1ff
	v_cndmask_b32_e64 v7, v7, v9, s3
	v_add_nc_u32_e32 v9, 4, v6
	ds_bpermute_b32 v2, v2, v7
	v_cmp_lt_u32_e64 s3, v9, v8
	s_wait_dscnt 0x0
	v_add_f32_e32 v2, v7, v2
	s_wait_alu 0xf1ff
	s_delay_alu instid0(VALU_DEP_1) | instskip(SKIP_3) | instid1(VALU_DEP_1)
	v_cndmask_b32_e64 v2, v7, v2, s3
	ds_bpermute_b32 v3, v3, v2
	s_wait_dscnt 0x0
	v_dual_add_f32 v3, v2, v3 :: v_dual_add_nc_u32 v6, 8, v6
	v_cmp_lt_u32_e64 s3, v6, v8
	s_wait_alu 0xf1ff
	s_delay_alu instid0(VALU_DEP_1) | instskip(NEXT) | instid1(VALU_DEP_1)
	v_cndmask_b32_e64 v2, v2, v3, s3
	v_cndmask_b32_e32 v5, v5, v2, vcc_lo
.LBB14_10:
	s_wait_alu 0xfffe
	s_or_b32 exec_lo, exec_lo, s8
	s_delay_alu instid0(SALU_CYCLE_1)
	s_mov_b32 s3, exec_lo
	v_cmpx_eq_u32_e32 0, v0
	s_cbranch_execz .LBB14_12
; %bb.11:
	s_cvt_f32_i32 s8, s11
	s_load_b32 s0, s[0:1], 0x30
	s_delay_alu instid0(SALU_CYCLE_2) | instskip(SKIP_1) | instid1(VALU_DEP_2)
	v_div_scale_f32 v2, null, s8, s8, v5
	v_div_scale_f32 v7, vcc_lo, v5, s8, v5
	v_rcp_f32_e32 v3, v2
	s_delay_alu instid0(TRANS32_DEP_1) | instskip(NEXT) | instid1(VALU_DEP_1)
	v_fma_f32 v6, -v2, v3, 1.0
	v_fmac_f32_e32 v3, v6, v3
	s_delay_alu instid0(VALU_DEP_1) | instskip(NEXT) | instid1(VALU_DEP_1)
	v_mul_f32_e32 v6, v7, v3
	v_fma_f32 v8, -v2, v6, v7
	s_delay_alu instid0(VALU_DEP_1) | instskip(NEXT) | instid1(VALU_DEP_1)
	v_fmac_f32_e32 v6, v8, v3
	v_fma_f32 v2, -v2, v6, v7
	s_wait_alu 0xfffd
	s_delay_alu instid0(VALU_DEP_1) | instskip(NEXT) | instid1(VALU_DEP_1)
	v_div_fmas_f32 v2, v2, v3, v6
	v_div_fixup_f32 v2, v2, s8, v5
	s_wait_kmcnt 0x0
	s_delay_alu instid0(VALU_DEP_1) | instskip(NEXT) | instid1(VALU_DEP_1)
	v_add_f32_e32 v2, s0, v2
	v_mul_f32_e32 v3, 0x4b800000, v2
	v_cmp_gt_f32_e32 vcc_lo, 0x800000, v2
	s_wait_alu 0xfffd
	s_delay_alu instid0(VALU_DEP_2) | instskip(NEXT) | instid1(VALU_DEP_1)
	v_cndmask_b32_e32 v2, v2, v3, vcc_lo
	v_rsq_f32_e32 v2, v2
	s_delay_alu instid0(TRANS32_DEP_1) | instskip(NEXT) | instid1(VALU_DEP_1)
	v_mul_f32_e32 v3, 0x45800000, v2
	v_dual_cndmask_b32 v2, v2, v3 :: v_dual_mov_b32 v3, 0
	ds_store_b32 v3, v2 offset:64
.LBB14_12:
	s_wait_alu 0xfffe
	s_or_b32 exec_lo, exec_lo, s3
	s_wait_loadcnt_dscnt 0x0
	s_barrier_signal -1
	s_barrier_wait -1
	global_inv scope:SCOPE_SE
	s_and_saveexec_b32 s0, s2
	s_cbranch_execz .LBB14_15
; %bb.13:
	s_wait_kmcnt 0x0
	s_load_b32 s0, s[6:7], 0x0
	s_mov_b32 s1, 0x43e00000
	s_wait_kmcnt 0x0
	v_div_scale_f32 v2, null, s0, s0, 1.0
	v_div_scale_f32 v7, vcc_lo, 1.0, s0, 1.0
	s_delay_alu instid0(VALU_DEP_2)
	v_rcp_f32_e32 v6, v2
	v_xor_b32_e32 v2, 0x80000000, v2
	s_delay_alu instid0(TRANS32_DEP_1) | instid1(VALU_DEP_1)
	v_fma_f32 v3, v2, v6, 1.0
	s_delay_alu instid0(VALU_DEP_1) | instskip(NEXT) | instid1(VALU_DEP_1)
	v_dual_fmac_f32 v6, v3, v6 :: v_dual_mov_b32 v3, 0
	v_mul_f32_e32 v8, v7, v6
	s_delay_alu instid0(VALU_DEP_1) | instskip(NEXT) | instid1(VALU_DEP_1)
	v_fma_f32 v5, v2, v8, v7
	v_fmac_f32_e32 v8, v5, v6
	ds_load_b32 v5, v3 offset:64
	v_fmac_f32_e32 v7, v2, v8
	s_wait_alu 0xfffd
	s_delay_alu instid0(VALU_DEP_1) | instskip(SKIP_1) | instid1(VALU_DEP_2)
	v_div_fmas_f32 v2, v7, v6, v8
	v_mul_lo_u32 v6, s11, v1
	v_div_fixup_f32 v7, v2, s0, 1.0
	s_mov_b32 s0, 0
.LBB14_14:                              ; =>This Inner Loop Header: Depth=1
	s_delay_alu instid0(VALU_DEP_2) | instskip(SKIP_1) | instid1(VALU_DEP_2)
	v_add_nc_u32_e32 v2, v6, v0
	v_ashrrev_i32_e32 v1, 31, v0
	v_lshlrev_b64_e32 v[8:9], 1, v[2:3]
	s_delay_alu instid0(VALU_DEP_2) | instskip(SKIP_1) | instid1(VALU_DEP_3)
	v_lshlrev_b64_e32 v[10:11], 1, v[0:1]
	v_add_nc_u32_e32 v0, v0, v4
	v_add_co_u32 v8, vcc_lo, s12, v8
	s_wait_alu 0xfffd
	s_delay_alu instid0(VALU_DEP_4) | instskip(NEXT) | instid1(VALU_DEP_4)
	v_add_co_ci_u32_e64 v9, null, s13, v9, vcc_lo
	v_add_co_u32 v10, vcc_lo, s4, v10
	s_wait_alu 0xfffd
	v_add_co_ci_u32_e64 v11, null, s5, v11, vcc_lo
	global_load_u16 v1, v[8:9], off
	global_load_u16 v8, v[10:11], off
	v_mov_b32_e32 v9, v3
	s_wait_loadcnt_dscnt 0x100
	v_fma_mixlo_f16 v1, v5, v1, 0 op_sel_hi:[0,1,0]
	s_wait_loadcnt 0x0
	s_delay_alu instid0(VALU_DEP_1) | instskip(NEXT) | instid1(VALU_DEP_1)
	v_mul_f16_e32 v1, v8, v1
	v_cvt_f32_f16_e32 v1, v1
	s_delay_alu instid0(VALU_DEP_1) | instskip(SKIP_1) | instid1(VALU_DEP_1)
	v_mul_f32_e32 v1, v7, v1
	s_wait_alu 0xfffe
	v_minmax_num_f32 v1, v1, s1, 0xc3e00000
	s_delay_alu instid0(VALU_DEP_1) | instskip(SKIP_2) | instid1(VALU_DEP_2)
	v_med3_num_f32 v8, v1, s1, 0xc3e00000
	v_cmp_nlg_f32_e64 vcc_lo, 0x7f800000, |v1|
	s_wait_alu 0xfffd
	v_cndmask_b32_e32 v1, v8, v1, vcc_lo
	v_cmp_le_i32_e32 vcc_lo, s11, v0
	s_delay_alu instid0(VALU_DEP_2)
	v_cvt_pk_fp8_f32 v9, v1, v1
	s_or_b32 s0, vcc_lo, s0
	global_store_b8 v2, v9, s[14:15]
	s_wait_alu 0xfffe
	s_and_not1_b32 exec_lo, exec_lo, s0
	s_cbranch_execnz .LBB14_14
.LBB14_15:
	s_endpgm
	.section	.rodata,"a",@progbits
	.p2align	6, 0x0
	.amdhsa_kernel _ZN4vllm42fused_add_rms_norm_static_fp8_quant_kernelIN3c104HalfELi0ENS1_13Float8_e4m3fnEEENSt9enable_ifIXooeqT0_Li0Entsr12_typeConvertIT_EE6existsEvE4typeEPT1_PS5_iSA_PKS5_PKffii
		.amdhsa_group_segment_fixed_size 68
		.amdhsa_private_segment_fixed_size 0
		.amdhsa_kernarg_size 320
		.amdhsa_user_sgpr_count 2
		.amdhsa_user_sgpr_dispatch_ptr 0
		.amdhsa_user_sgpr_queue_ptr 0
		.amdhsa_user_sgpr_kernarg_segment_ptr 1
		.amdhsa_user_sgpr_dispatch_id 0
		.amdhsa_user_sgpr_private_segment_size 0
		.amdhsa_wavefront_size32 1
		.amdhsa_uses_dynamic_stack 0
		.amdhsa_enable_private_segment 0
		.amdhsa_system_sgpr_workgroup_id_x 1
		.amdhsa_system_sgpr_workgroup_id_y 0
		.amdhsa_system_sgpr_workgroup_id_z 0
		.amdhsa_system_sgpr_workgroup_info 0
		.amdhsa_system_vgpr_workitem_id 0
		.amdhsa_next_free_vgpr 12
		.amdhsa_next_free_sgpr 19
		.amdhsa_reserve_vcc 1
		.amdhsa_float_round_mode_32 0
		.amdhsa_float_round_mode_16_64 0
		.amdhsa_float_denorm_mode_32 3
		.amdhsa_float_denorm_mode_16_64 3
		.amdhsa_fp16_overflow 0
		.amdhsa_workgroup_processor_mode 1
		.amdhsa_memory_ordered 1
		.amdhsa_forward_progress 1
		.amdhsa_inst_pref_size 14
		.amdhsa_round_robin_scheduling 0
		.amdhsa_exception_fp_ieee_invalid_op 0
		.amdhsa_exception_fp_denorm_src 0
		.amdhsa_exception_fp_ieee_div_zero 0
		.amdhsa_exception_fp_ieee_overflow 0
		.amdhsa_exception_fp_ieee_underflow 0
		.amdhsa_exception_fp_ieee_inexact 0
		.amdhsa_exception_int_div_zero 0
	.end_amdhsa_kernel
	.section	.text._ZN4vllm42fused_add_rms_norm_static_fp8_quant_kernelIN3c104HalfELi0ENS1_13Float8_e4m3fnEEENSt9enable_ifIXooeqT0_Li0Entsr12_typeConvertIT_EE6existsEvE4typeEPT1_PS5_iSA_PKS5_PKffii,"axG",@progbits,_ZN4vllm42fused_add_rms_norm_static_fp8_quant_kernelIN3c104HalfELi0ENS1_13Float8_e4m3fnEEENSt9enable_ifIXooeqT0_Li0Entsr12_typeConvertIT_EE6existsEvE4typeEPT1_PS5_iSA_PKS5_PKffii,comdat
.Lfunc_end14:
	.size	_ZN4vllm42fused_add_rms_norm_static_fp8_quant_kernelIN3c104HalfELi0ENS1_13Float8_e4m3fnEEENSt9enable_ifIXooeqT0_Li0Entsr12_typeConvertIT_EE6existsEvE4typeEPT1_PS5_iSA_PKS5_PKffii, .Lfunc_end14-_ZN4vllm42fused_add_rms_norm_static_fp8_quant_kernelIN3c104HalfELi0ENS1_13Float8_e4m3fnEEENSt9enable_ifIXooeqT0_Li0Entsr12_typeConvertIT_EE6existsEvE4typeEPT1_PS5_iSA_PKS5_PKffii
                                        ; -- End function
	.set _ZN4vllm42fused_add_rms_norm_static_fp8_quant_kernelIN3c104HalfELi0ENS1_13Float8_e4m3fnEEENSt9enable_ifIXooeqT0_Li0Entsr12_typeConvertIT_EE6existsEvE4typeEPT1_PS5_iSA_PKS5_PKffii.num_vgpr, 12
	.set _ZN4vllm42fused_add_rms_norm_static_fp8_quant_kernelIN3c104HalfELi0ENS1_13Float8_e4m3fnEEENSt9enable_ifIXooeqT0_Li0Entsr12_typeConvertIT_EE6existsEvE4typeEPT1_PS5_iSA_PKS5_PKffii.num_agpr, 0
	.set _ZN4vllm42fused_add_rms_norm_static_fp8_quant_kernelIN3c104HalfELi0ENS1_13Float8_e4m3fnEEENSt9enable_ifIXooeqT0_Li0Entsr12_typeConvertIT_EE6existsEvE4typeEPT1_PS5_iSA_PKS5_PKffii.numbered_sgpr, 19
	.set _ZN4vllm42fused_add_rms_norm_static_fp8_quant_kernelIN3c104HalfELi0ENS1_13Float8_e4m3fnEEENSt9enable_ifIXooeqT0_Li0Entsr12_typeConvertIT_EE6existsEvE4typeEPT1_PS5_iSA_PKS5_PKffii.num_named_barrier, 0
	.set _ZN4vllm42fused_add_rms_norm_static_fp8_quant_kernelIN3c104HalfELi0ENS1_13Float8_e4m3fnEEENSt9enable_ifIXooeqT0_Li0Entsr12_typeConvertIT_EE6existsEvE4typeEPT1_PS5_iSA_PKS5_PKffii.private_seg_size, 0
	.set _ZN4vllm42fused_add_rms_norm_static_fp8_quant_kernelIN3c104HalfELi0ENS1_13Float8_e4m3fnEEENSt9enable_ifIXooeqT0_Li0Entsr12_typeConvertIT_EE6existsEvE4typeEPT1_PS5_iSA_PKS5_PKffii.uses_vcc, 1
	.set _ZN4vllm42fused_add_rms_norm_static_fp8_quant_kernelIN3c104HalfELi0ENS1_13Float8_e4m3fnEEENSt9enable_ifIXooeqT0_Li0Entsr12_typeConvertIT_EE6existsEvE4typeEPT1_PS5_iSA_PKS5_PKffii.uses_flat_scratch, 0
	.set _ZN4vllm42fused_add_rms_norm_static_fp8_quant_kernelIN3c104HalfELi0ENS1_13Float8_e4m3fnEEENSt9enable_ifIXooeqT0_Li0Entsr12_typeConvertIT_EE6existsEvE4typeEPT1_PS5_iSA_PKS5_PKffii.has_dyn_sized_stack, 0
	.set _ZN4vllm42fused_add_rms_norm_static_fp8_quant_kernelIN3c104HalfELi0ENS1_13Float8_e4m3fnEEENSt9enable_ifIXooeqT0_Li0Entsr12_typeConvertIT_EE6existsEvE4typeEPT1_PS5_iSA_PKS5_PKffii.has_recursion, 0
	.set _ZN4vllm42fused_add_rms_norm_static_fp8_quant_kernelIN3c104HalfELi0ENS1_13Float8_e4m3fnEEENSt9enable_ifIXooeqT0_Li0Entsr12_typeConvertIT_EE6existsEvE4typeEPT1_PS5_iSA_PKS5_PKffii.has_indirect_call, 0
	.section	.AMDGPU.csdata,"",@progbits
; Kernel info:
; codeLenInByte = 1672
; TotalNumSgprs: 21
; NumVgprs: 12
; ScratchSize: 0
; MemoryBound: 0
; FloatMode: 240
; IeeeMode: 1
; LDSByteSize: 68 bytes/workgroup (compile time only)
; SGPRBlocks: 0
; VGPRBlocks: 1
; NumSGPRsForWavesPerEU: 21
; NumVGPRsForWavesPerEU: 12
; Occupancy: 16
; WaveLimiterHint : 0
; COMPUTE_PGM_RSRC2:SCRATCH_EN: 0
; COMPUTE_PGM_RSRC2:USER_SGPR: 2
; COMPUTE_PGM_RSRC2:TRAP_HANDLER: 0
; COMPUTE_PGM_RSRC2:TGID_X_EN: 1
; COMPUTE_PGM_RSRC2:TGID_Y_EN: 0
; COMPUTE_PGM_RSRC2:TGID_Z_EN: 0
; COMPUTE_PGM_RSRC2:TIDIG_COMP_CNT: 0
	.section	.text._ZN4vllm42fused_add_rms_norm_static_fp8_quant_kernelIN3c104HalfELi0ENS1_15Float8_e4m3fnuzEEENSt9enable_ifIXooeqT0_Li0Entsr12_typeConvertIT_EE6existsEvE4typeEPT1_PS5_iSA_PKS5_PKffii,"axG",@progbits,_ZN4vllm42fused_add_rms_norm_static_fp8_quant_kernelIN3c104HalfELi0ENS1_15Float8_e4m3fnuzEEENSt9enable_ifIXooeqT0_Li0Entsr12_typeConvertIT_EE6existsEvE4typeEPT1_PS5_iSA_PKS5_PKffii,comdat
	.protected	_ZN4vllm42fused_add_rms_norm_static_fp8_quant_kernelIN3c104HalfELi0ENS1_15Float8_e4m3fnuzEEENSt9enable_ifIXooeqT0_Li0Entsr12_typeConvertIT_EE6existsEvE4typeEPT1_PS5_iSA_PKS5_PKffii ; -- Begin function _ZN4vllm42fused_add_rms_norm_static_fp8_quant_kernelIN3c104HalfELi0ENS1_15Float8_e4m3fnuzEEENSt9enable_ifIXooeqT0_Li0Entsr12_typeConvertIT_EE6existsEvE4typeEPT1_PS5_iSA_PKS5_PKffii
	.globl	_ZN4vllm42fused_add_rms_norm_static_fp8_quant_kernelIN3c104HalfELi0ENS1_15Float8_e4m3fnuzEEENSt9enable_ifIXooeqT0_Li0Entsr12_typeConvertIT_EE6existsEvE4typeEPT1_PS5_iSA_PKS5_PKffii
	.p2align	8
	.type	_ZN4vllm42fused_add_rms_norm_static_fp8_quant_kernelIN3c104HalfELi0ENS1_15Float8_e4m3fnuzEEENSt9enable_ifIXooeqT0_Li0Entsr12_typeConvertIT_EE6existsEvE4typeEPT1_PS5_iSA_PKS5_PKffii,@function
_ZN4vllm42fused_add_rms_norm_static_fp8_quant_kernelIN3c104HalfELi0ENS1_15Float8_e4m3fnuzEEENSt9enable_ifIXooeqT0_Li0Entsr12_typeConvertIT_EE6existsEvE4typeEPT1_PS5_iSA_PKS5_PKffii: ; @_ZN4vllm42fused_add_rms_norm_static_fp8_quant_kernelIN3c104HalfELi0ENS1_15Float8_e4m3fnuzEEENSt9enable_ifIXooeqT0_Li0Entsr12_typeConvertIT_EE6existsEvE4typeEPT1_PS5_iSA_PKS5_PKffii
; %bb.0:
	s_load_b32 s7, s[0:1], 0x38
	s_mov_b32 s3, exec_lo
                                        ; implicit-def: $sgpr4
	s_wait_kmcnt 0x0
	v_cmp_gt_i32_e64 s2, s7, v0
	v_cmpx_le_i32_e64 s7, v0
	s_xor_b32 s3, exec_lo, s3
	s_cbranch_execz .LBB15_2
; %bb.1:
	s_load_b32 s4, s[0:1], 0x4c
	s_wait_kmcnt 0x0
	s_and_b32 s4, s4, 0xffff
.LBB15_2:
	s_or_saveexec_b32 s3, s3
	v_dual_mov_b32 v3, 0 :: v_dual_mov_b32 v2, s4
	s_xor_b32 exec_lo, exec_lo, s3
	s_cbranch_execz .LBB15_6
; %bb.3:
	s_clause 0x2
	s_load_b96 s[4:6], s[0:1], 0x8
	s_load_b32 s12, s[0:1], 0x4c
	s_load_b64 s[8:9], s[0:1], 0x18
	v_dual_mov_b32 v2, 0 :: v_dual_mov_b32 v3, 0
	v_mov_b32_e32 v4, v0
	s_mul_i32 s10, s7, ttmp9
	s_wait_kmcnt 0x0
	s_mul_i32 s11, s6, ttmp9
	s_and_b32 s6, s12, 0xffff
	s_mov_b32 s12, 0
.LBB15_4:                               ; =>This Inner Loop Header: Depth=1
	v_add_nc_u32_e32 v1, s11, v4
	s_delay_alu instid0(VALU_DEP_1) | instskip(SKIP_3) | instid1(VALU_DEP_2)
	v_lshlrev_b64_e32 v[5:6], 1, v[1:2]
	v_add_nc_u32_e32 v1, s10, v4
	s_wait_alu 0xfffe
	v_add_nc_u32_e32 v4, s6, v4
	v_lshlrev_b64_e32 v[7:8], 1, v[1:2]
	s_delay_alu instid0(VALU_DEP_4) | instskip(SKIP_2) | instid1(VALU_DEP_3)
	v_add_co_u32 v5, vcc_lo, s4, v5
	s_wait_alu 0xfffd
	v_add_co_ci_u32_e64 v6, null, s5, v6, vcc_lo
	v_add_co_u32 v7, vcc_lo, s8, v7
	s_wait_alu 0xfffd
	v_add_co_ci_u32_e64 v8, null, s9, v8, vcc_lo
	v_cmp_le_i32_e32 vcc_lo, s7, v4
	global_load_u16 v1, v[5:6], off
	global_load_u16 v5, v[7:8], off
	s_or_b32 s12, vcc_lo, s12
	s_wait_loadcnt 0x0
	v_add_f16_e32 v1, v1, v5
	s_delay_alu instid0(VALU_DEP_1)
	v_fma_mix_f32 v3, v1, v1, v3 op_sel_hi:[1,1,0]
	global_store_b16 v[7:8], v1, off
	s_and_not1_b32 exec_lo, exec_lo, s12
	s_cbranch_execnz .LBB15_4
; %bb.5:
	s_or_b32 exec_lo, exec_lo, s12
	v_mov_b32_e32 v2, s6
.LBB15_6:
	s_or_b32 exec_lo, exec_lo, s3
	v_mbcnt_lo_u32_b32 v1, -1, 0
	v_and_b32_e32 v5, 0x3c0, v0
	s_mov_b32 s3, exec_lo
	s_delay_alu instid0(VALU_DEP_2) | instskip(NEXT) | instid1(VALU_DEP_2)
	v_cmp_ne_u32_e32 vcc_lo, 63, v1
	v_sub_nc_u32_e64 v5, v2, v5 clamp
	s_wait_alu 0xfffd
	v_add_co_ci_u32_e64 v4, null, 0, v1, vcc_lo
	v_cmp_gt_u32_e32 vcc_lo, 62, v1
	s_delay_alu instid0(VALU_DEP_2)
	v_lshlrev_b32_e32 v4, 2, v4
	s_wait_alu 0xfffd
	v_cndmask_b32_e64 v6, 0, 2, vcc_lo
	ds_bpermute_b32 v4, v4, v3
	v_add_nc_u32_e32 v7, 1, v1
	v_add_lshl_u32 v6, v6, v1, 2
	s_wait_dscnt 0x0
	v_add_f32_e32 v4, v3, v4
	s_delay_alu instid0(VALU_DEP_3) | instskip(SKIP_1) | instid1(VALU_DEP_2)
	v_cmp_lt_u32_e32 vcc_lo, v7, v5
	s_wait_alu 0xfffd
	v_cndmask_b32_e32 v3, v3, v4, vcc_lo
	v_cmp_gt_u32_e32 vcc_lo, 60, v1
	ds_bpermute_b32 v4, v6, v3
	v_add_nc_u32_e32 v7, 2, v1
	s_wait_alu 0xfffd
	v_cndmask_b32_e64 v6, 0, 4, vcc_lo
	s_delay_alu instid0(VALU_DEP_1) | instskip(SKIP_4) | instid1(VALU_DEP_2)
	v_add_lshl_u32 v6, v6, v1, 2
	s_wait_dscnt 0x0
	v_add_f32_e32 v4, v3, v4
	v_cmp_lt_u32_e32 vcc_lo, v7, v5
	s_wait_alu 0xfffd
	v_cndmask_b32_e32 v3, v3, v4, vcc_lo
	v_cmp_gt_u32_e32 vcc_lo, 56, v1
	ds_bpermute_b32 v4, v6, v3
	v_add_nc_u32_e32 v7, 4, v1
	s_wait_alu 0xfffd
	v_cndmask_b32_e64 v6, 0, 8, vcc_lo
	s_delay_alu instid0(VALU_DEP_1) | instskip(SKIP_4) | instid1(VALU_DEP_2)
	v_add_lshl_u32 v6, v6, v1, 2
	s_wait_dscnt 0x0
	v_add_f32_e32 v4, v3, v4
	;; [unrolled: 12-line block ×3, first 2 shown]
	v_cmp_lt_u32_e32 vcc_lo, v7, v5
	s_wait_alu 0xfffd
	v_cndmask_b32_e32 v4, v3, v4, vcc_lo
	ds_bpermute_b32 v3, v6, v4
	v_add_nc_u32_e32 v6, 16, v1
	s_delay_alu instid0(VALU_DEP_1) | instskip(SKIP_3) | instid1(VALU_DEP_1)
	v_cmp_lt_u32_e32 vcc_lo, v6, v5
	s_wait_dscnt 0x0
	v_add_f32_e32 v7, v4, v3
	s_wait_alu 0xfffd
	v_dual_cndmask_b32 v4, v4, v7 :: v_dual_lshlrev_b32 v3, 2, v1
	v_or_b32_e32 v7, 32, v1
	ds_bpermute_b32 v6, v3, v4 offset:128
	v_cmp_lt_u32_e32 vcc_lo, v7, v5
	s_wait_dscnt 0x0
	v_add_f32_e32 v6, v4, v6
	s_wait_alu 0xfffd
	s_delay_alu instid0(VALU_DEP_1)
	v_cndmask_b32_e32 v4, v4, v6, vcc_lo
	v_cmpx_eq_u32_e32 0, v1
; %bb.7:
	v_lshrrev_b32_e32 v5, 4, v0
	s_delay_alu instid0(VALU_DEP_1)
	v_and_b32_e32 v5, 60, v5
	ds_store_b32 v5, v4
; %bb.8:
	s_or_b32 exec_lo, exec_lo, s3
	s_delay_alu instid0(SALU_CYCLE_1)
	s_mov_b32 s4, exec_lo
	s_wait_storecnt_dscnt 0x0
	s_barrier_signal -1
	s_barrier_wait -1
	global_inv scope:SCOPE_SE
	v_cmpx_gt_u32_e32 16, v0
	s_cbranch_execz .LBB15_10
; %bb.9:
	ds_load_b32 v4, v3
	v_and_b32_e32 v5, 15, v1
	v_add_nc_u32_e32 v2, 63, v2
	v_or_b32_e32 v3, 32, v3
	s_delay_alu instid0(VALU_DEP_3) | instskip(NEXT) | instid1(VALU_DEP_3)
	v_cmp_ne_u32_e32 vcc_lo, 15, v5
	v_lshrrev_b32_e32 v2, 6, v2
	s_wait_alu 0xfffd
	v_add_co_ci_u32_e64 v6, null, 0, v1, vcc_lo
	s_delay_alu instid0(VALU_DEP_1)
	v_lshlrev_b32_e32 v6, 2, v6
	s_wait_dscnt 0x0
	ds_bpermute_b32 v6, v6, v4
	s_wait_dscnt 0x0
	v_add_f32_e32 v6, v4, v6
	v_cmp_gt_u32_e32 vcc_lo, 14, v5
	v_add_nc_u32_e32 v8, 1, v5
	v_cmp_gt_u32_e64 s3, 12, v5
	v_add_nc_u32_e32 v9, 2, v5
	s_wait_alu 0xfffd
	v_cndmask_b32_e64 v7, 0, 2, vcc_lo
	v_cmp_lt_u32_e32 vcc_lo, v8, v2
	v_cndmask_b32_e64 v8, 0, 4, s3
	v_cmp_lt_u32_e64 s3, v9, v2
	s_delay_alu instid0(VALU_DEP_4)
	v_add_lshl_u32 v7, v7, v1, 2
	s_wait_alu 0xfffd
	v_cndmask_b32_e32 v6, v4, v6, vcc_lo
	v_add_lshl_u32 v1, v8, v1, 2
	ds_bpermute_b32 v7, v7, v6
	s_wait_dscnt 0x0
	v_add_f32_e32 v7, v6, v7
	s_wait_alu 0xf1ff
	s_delay_alu instid0(VALU_DEP_1)
	v_cndmask_b32_e64 v6, v6, v7, s3
	v_add_nc_u32_e32 v7, 4, v5
	v_add_nc_u32_e32 v5, 8, v5
	ds_bpermute_b32 v1, v1, v6
	v_cmp_lt_u32_e64 s3, v7, v2
	s_wait_dscnt 0x0
	v_add_f32_e32 v1, v6, v1
	s_wait_alu 0xf1ff
	s_delay_alu instid0(VALU_DEP_1)
	v_cndmask_b32_e64 v1, v6, v1, s3
	v_cmp_lt_u32_e64 s3, v5, v2
	ds_bpermute_b32 v3, v3, v1
	s_wait_dscnt 0x0
	v_add_f32_e32 v3, v1, v3
	s_wait_alu 0xf1ff
	s_delay_alu instid0(VALU_DEP_1) | instskip(NEXT) | instid1(VALU_DEP_1)
	v_cndmask_b32_e64 v1, v1, v3, s3
	v_cndmask_b32_e32 v4, v4, v1, vcc_lo
.LBB15_10:
	s_wait_alu 0xfffe
	s_or_b32 exec_lo, exec_lo, s4
	s_delay_alu instid0(SALU_CYCLE_1)
	s_mov_b32 s3, exec_lo
	v_cmpx_eq_u32_e32 0, v0
	s_cbranch_execz .LBB15_12
; %bb.11:
	s_cvt_f32_i32 s4, s7
	s_load_b32 s0, s[0:1], 0x30
	s_delay_alu instid0(SALU_CYCLE_2) | instskip(SKIP_1) | instid1(VALU_DEP_2)
	v_div_scale_f32 v0, null, s4, s4, v4
	v_div_scale_f32 v3, vcc_lo, v4, s4, v4
	v_rcp_f32_e32 v1, v0
	s_delay_alu instid0(TRANS32_DEP_1) | instskip(NEXT) | instid1(VALU_DEP_1)
	v_fma_f32 v2, -v0, v1, 1.0
	v_fmac_f32_e32 v1, v2, v1
	s_delay_alu instid0(VALU_DEP_1) | instskip(NEXT) | instid1(VALU_DEP_1)
	v_mul_f32_e32 v2, v3, v1
	v_fma_f32 v5, -v0, v2, v3
	s_delay_alu instid0(VALU_DEP_1) | instskip(NEXT) | instid1(VALU_DEP_1)
	v_fmac_f32_e32 v2, v5, v1
	v_fma_f32 v0, -v0, v2, v3
	s_wait_alu 0xfffd
	s_delay_alu instid0(VALU_DEP_1) | instskip(NEXT) | instid1(VALU_DEP_1)
	v_div_fmas_f32 v0, v0, v1, v2
	v_div_fixup_f32 v0, v0, s4, v4
	s_wait_kmcnt 0x0
	s_delay_alu instid0(VALU_DEP_1) | instskip(NEXT) | instid1(VALU_DEP_1)
	v_add_f32_e32 v0, s0, v0
	v_mul_f32_e32 v1, 0x4b800000, v0
	v_cmp_gt_f32_e32 vcc_lo, 0x800000, v0
	s_wait_alu 0xfffd
	s_delay_alu instid0(VALU_DEP_2) | instskip(NEXT) | instid1(VALU_DEP_1)
	v_cndmask_b32_e32 v0, v0, v1, vcc_lo
	v_rsq_f32_e32 v0, v0
	s_delay_alu instid0(TRANS32_DEP_1) | instskip(NEXT) | instid1(VALU_DEP_1)
	v_mul_f32_e32 v1, 0x45800000, v0
	v_dual_cndmask_b32 v0, v0, v1 :: v_dual_mov_b32 v1, 0
	ds_store_b32 v1, v0 offset:64
.LBB15_12:
	s_wait_alu 0xfffe
	s_or_b32 exec_lo, exec_lo, s3
	s_wait_loadcnt_dscnt 0x0
	s_barrier_signal -1
	s_barrier_wait -1
	global_inv scope:SCOPE_SE
	s_and_saveexec_b32 s0, s2
	s_cbranch_execnz .LBB15_14
; %bb.13:
	s_endpgm
.LBB15_14:
	s_trap 2
	; divergent unreachable
	s_endpgm
	.section	.rodata,"a",@progbits
	.p2align	6, 0x0
	.amdhsa_kernel _ZN4vllm42fused_add_rms_norm_static_fp8_quant_kernelIN3c104HalfELi0ENS1_15Float8_e4m3fnuzEEENSt9enable_ifIXooeqT0_Li0Entsr12_typeConvertIT_EE6existsEvE4typeEPT1_PS5_iSA_PKS5_PKffii
		.amdhsa_group_segment_fixed_size 68
		.amdhsa_private_segment_fixed_size 0
		.amdhsa_kernarg_size 320
		.amdhsa_user_sgpr_count 2
		.amdhsa_user_sgpr_dispatch_ptr 0
		.amdhsa_user_sgpr_queue_ptr 0
		.amdhsa_user_sgpr_kernarg_segment_ptr 1
		.amdhsa_user_sgpr_dispatch_id 0
		.amdhsa_user_sgpr_private_segment_size 0
		.amdhsa_wavefront_size32 1
		.amdhsa_uses_dynamic_stack 0
		.amdhsa_enable_private_segment 0
		.amdhsa_system_sgpr_workgroup_id_x 1
		.amdhsa_system_sgpr_workgroup_id_y 0
		.amdhsa_system_sgpr_workgroup_id_z 0
		.amdhsa_system_sgpr_workgroup_info 0
		.amdhsa_system_vgpr_workitem_id 0
		.amdhsa_next_free_vgpr 10
		.amdhsa_next_free_sgpr 13
		.amdhsa_reserve_vcc 1
		.amdhsa_float_round_mode_32 0
		.amdhsa_float_round_mode_16_64 0
		.amdhsa_float_denorm_mode_32 3
		.amdhsa_float_denorm_mode_16_64 3
		.amdhsa_fp16_overflow 0
		.amdhsa_workgroup_processor_mode 1
		.amdhsa_memory_ordered 1
		.amdhsa_forward_progress 1
		.amdhsa_inst_pref_size 10
		.amdhsa_round_robin_scheduling 0
		.amdhsa_exception_fp_ieee_invalid_op 0
		.amdhsa_exception_fp_denorm_src 0
		.amdhsa_exception_fp_ieee_div_zero 0
		.amdhsa_exception_fp_ieee_overflow 0
		.amdhsa_exception_fp_ieee_underflow 0
		.amdhsa_exception_fp_ieee_inexact 0
		.amdhsa_exception_int_div_zero 0
	.end_amdhsa_kernel
	.section	.text._ZN4vllm42fused_add_rms_norm_static_fp8_quant_kernelIN3c104HalfELi0ENS1_15Float8_e4m3fnuzEEENSt9enable_ifIXooeqT0_Li0Entsr12_typeConvertIT_EE6existsEvE4typeEPT1_PS5_iSA_PKS5_PKffii,"axG",@progbits,_ZN4vllm42fused_add_rms_norm_static_fp8_quant_kernelIN3c104HalfELi0ENS1_15Float8_e4m3fnuzEEENSt9enable_ifIXooeqT0_Li0Entsr12_typeConvertIT_EE6existsEvE4typeEPT1_PS5_iSA_PKS5_PKffii,comdat
.Lfunc_end15:
	.size	_ZN4vllm42fused_add_rms_norm_static_fp8_quant_kernelIN3c104HalfELi0ENS1_15Float8_e4m3fnuzEEENSt9enable_ifIXooeqT0_Li0Entsr12_typeConvertIT_EE6existsEvE4typeEPT1_PS5_iSA_PKS5_PKffii, .Lfunc_end15-_ZN4vllm42fused_add_rms_norm_static_fp8_quant_kernelIN3c104HalfELi0ENS1_15Float8_e4m3fnuzEEENSt9enable_ifIXooeqT0_Li0Entsr12_typeConvertIT_EE6existsEvE4typeEPT1_PS5_iSA_PKS5_PKffii
                                        ; -- End function
	.set _ZN4vllm42fused_add_rms_norm_static_fp8_quant_kernelIN3c104HalfELi0ENS1_15Float8_e4m3fnuzEEENSt9enable_ifIXooeqT0_Li0Entsr12_typeConvertIT_EE6existsEvE4typeEPT1_PS5_iSA_PKS5_PKffii.num_vgpr, 10
	.set _ZN4vllm42fused_add_rms_norm_static_fp8_quant_kernelIN3c104HalfELi0ENS1_15Float8_e4m3fnuzEEENSt9enable_ifIXooeqT0_Li0Entsr12_typeConvertIT_EE6existsEvE4typeEPT1_PS5_iSA_PKS5_PKffii.num_agpr, 0
	.set _ZN4vllm42fused_add_rms_norm_static_fp8_quant_kernelIN3c104HalfELi0ENS1_15Float8_e4m3fnuzEEENSt9enable_ifIXooeqT0_Li0Entsr12_typeConvertIT_EE6existsEvE4typeEPT1_PS5_iSA_PKS5_PKffii.numbered_sgpr, 13
	.set _ZN4vllm42fused_add_rms_norm_static_fp8_quant_kernelIN3c104HalfELi0ENS1_15Float8_e4m3fnuzEEENSt9enable_ifIXooeqT0_Li0Entsr12_typeConvertIT_EE6existsEvE4typeEPT1_PS5_iSA_PKS5_PKffii.num_named_barrier, 0
	.set _ZN4vllm42fused_add_rms_norm_static_fp8_quant_kernelIN3c104HalfELi0ENS1_15Float8_e4m3fnuzEEENSt9enable_ifIXooeqT0_Li0Entsr12_typeConvertIT_EE6existsEvE4typeEPT1_PS5_iSA_PKS5_PKffii.private_seg_size, 0
	.set _ZN4vllm42fused_add_rms_norm_static_fp8_quant_kernelIN3c104HalfELi0ENS1_15Float8_e4m3fnuzEEENSt9enable_ifIXooeqT0_Li0Entsr12_typeConvertIT_EE6existsEvE4typeEPT1_PS5_iSA_PKS5_PKffii.uses_vcc, 1
	.set _ZN4vllm42fused_add_rms_norm_static_fp8_quant_kernelIN3c104HalfELi0ENS1_15Float8_e4m3fnuzEEENSt9enable_ifIXooeqT0_Li0Entsr12_typeConvertIT_EE6existsEvE4typeEPT1_PS5_iSA_PKS5_PKffii.uses_flat_scratch, 0
	.set _ZN4vllm42fused_add_rms_norm_static_fp8_quant_kernelIN3c104HalfELi0ENS1_15Float8_e4m3fnuzEEENSt9enable_ifIXooeqT0_Li0Entsr12_typeConvertIT_EE6existsEvE4typeEPT1_PS5_iSA_PKS5_PKffii.has_dyn_sized_stack, 0
	.set _ZN4vllm42fused_add_rms_norm_static_fp8_quant_kernelIN3c104HalfELi0ENS1_15Float8_e4m3fnuzEEENSt9enable_ifIXooeqT0_Li0Entsr12_typeConvertIT_EE6existsEvE4typeEPT1_PS5_iSA_PKS5_PKffii.has_recursion, 0
	.set _ZN4vllm42fused_add_rms_norm_static_fp8_quant_kernelIN3c104HalfELi0ENS1_15Float8_e4m3fnuzEEENSt9enable_ifIXooeqT0_Li0Entsr12_typeConvertIT_EE6existsEvE4typeEPT1_PS5_iSA_PKS5_PKffii.has_indirect_call, 0
	.section	.AMDGPU.csdata,"",@progbits
; Kernel info:
; codeLenInByte = 1272
; TotalNumSgprs: 15
; NumVgprs: 10
; ScratchSize: 0
; MemoryBound: 0
; FloatMode: 240
; IeeeMode: 1
; LDSByteSize: 68 bytes/workgroup (compile time only)
; SGPRBlocks: 0
; VGPRBlocks: 1
; NumSGPRsForWavesPerEU: 15
; NumVGPRsForWavesPerEU: 10
; Occupancy: 16
; WaveLimiterHint : 0
; COMPUTE_PGM_RSRC2:SCRATCH_EN: 0
; COMPUTE_PGM_RSRC2:USER_SGPR: 2
; COMPUTE_PGM_RSRC2:TRAP_HANDLER: 0
; COMPUTE_PGM_RSRC2:TGID_X_EN: 1
; COMPUTE_PGM_RSRC2:TGID_Y_EN: 0
; COMPUTE_PGM_RSRC2:TGID_Z_EN: 0
; COMPUTE_PGM_RSRC2:TIDIG_COMP_CNT: 0
	.section	.text._ZN4vllm42fused_add_rms_norm_static_fp8_quant_kernelIN3c108BFloat16ELi0ENS1_13Float8_e4m3fnEEENSt9enable_ifIXooeqT0_Li0Entsr12_typeConvertIT_EE6existsEvE4typeEPT1_PS5_iSA_PKS5_PKffii,"axG",@progbits,_ZN4vllm42fused_add_rms_norm_static_fp8_quant_kernelIN3c108BFloat16ELi0ENS1_13Float8_e4m3fnEEENSt9enable_ifIXooeqT0_Li0Entsr12_typeConvertIT_EE6existsEvE4typeEPT1_PS5_iSA_PKS5_PKffii,comdat
	.protected	_ZN4vllm42fused_add_rms_norm_static_fp8_quant_kernelIN3c108BFloat16ELi0ENS1_13Float8_e4m3fnEEENSt9enable_ifIXooeqT0_Li0Entsr12_typeConvertIT_EE6existsEvE4typeEPT1_PS5_iSA_PKS5_PKffii ; -- Begin function _ZN4vllm42fused_add_rms_norm_static_fp8_quant_kernelIN3c108BFloat16ELi0ENS1_13Float8_e4m3fnEEENSt9enable_ifIXooeqT0_Li0Entsr12_typeConvertIT_EE6existsEvE4typeEPT1_PS5_iSA_PKS5_PKffii
	.globl	_ZN4vllm42fused_add_rms_norm_static_fp8_quant_kernelIN3c108BFloat16ELi0ENS1_13Float8_e4m3fnEEENSt9enable_ifIXooeqT0_Li0Entsr12_typeConvertIT_EE6existsEvE4typeEPT1_PS5_iSA_PKS5_PKffii
	.p2align	8
	.type	_ZN4vllm42fused_add_rms_norm_static_fp8_quant_kernelIN3c108BFloat16ELi0ENS1_13Float8_e4m3fnEEENSt9enable_ifIXooeqT0_Li0Entsr12_typeConvertIT_EE6existsEvE4typeEPT1_PS5_iSA_PKS5_PKffii,@function
_ZN4vllm42fused_add_rms_norm_static_fp8_quant_kernelIN3c108BFloat16ELi0ENS1_13Float8_e4m3fnEEENSt9enable_ifIXooeqT0_Li0Entsr12_typeConvertIT_EE6existsEvE4typeEPT1_PS5_iSA_PKS5_PKffii: ; @_ZN4vllm42fused_add_rms_norm_static_fp8_quant_kernelIN3c108BFloat16ELi0ENS1_13Float8_e4m3fnEEENSt9enable_ifIXooeqT0_Li0Entsr12_typeConvertIT_EE6existsEvE4typeEPT1_PS5_iSA_PKS5_PKffii
; %bb.0:
	s_clause 0x1
	s_load_b32 s11, s[0:1], 0x38
	s_load_b64 s[12:13], s[0:1], 0x18
	s_mov_b32 s3, exec_lo
                                        ; implicit-def: $sgpr8
                                        ; implicit-def: $sgpr9
	s_wait_kmcnt 0x0
	v_cmp_gt_i32_e64 s2, s11, v0
	v_cmpx_le_i32_e64 s11, v0
	s_xor_b32 s3, exec_lo, s3
	s_cbranch_execz .LBB16_2
; %bb.1:
	s_load_b32 s4, s[0:1], 0x4c
	s_mov_b32 s8, ttmp9
	s_wait_kmcnt 0x0
	s_and_b32 s9, s4, 0xffff
.LBB16_2:
	s_or_saveexec_b32 s3, s3
	s_clause 0x1
	s_load_b64 s[14:15], s[0:1], 0x0
	s_load_b128 s[4:7], s[0:1], 0x20
	v_dual_mov_b32 v3, 0 :: v_dual_mov_b32 v4, s9
	v_mov_b32_e32 v1, s8
	s_xor_b32 exec_lo, exec_lo, s3
	s_cbranch_execz .LBB16_6
; %bb.3:
	s_clause 0x1
	s_load_b96 s[8:10], s[0:1], 0x8
	s_load_b32 s18, s[0:1], 0x4c
	v_dual_mov_b32 v2, 0 :: v_dual_mov_b32 v3, 0
	v_mov_b32_e32 v4, v0
	s_mul_i32 s16, s11, ttmp9
	s_wait_kmcnt 0x0
	s_mul_i32 s17, s10, ttmp9
	s_and_b32 s10, s18, 0xffff
	s_mov_b32 s18, 0
.LBB16_4:                               ; =>This Inner Loop Header: Depth=1
	v_add_nc_u32_e32 v1, s17, v4
	s_delay_alu instid0(VALU_DEP_1) | instskip(SKIP_3) | instid1(VALU_DEP_2)
	v_lshlrev_b64_e32 v[5:6], 1, v[1:2]
	v_add_nc_u32_e32 v1, s16, v4
	s_wait_alu 0xfffe
	v_add_nc_u32_e32 v4, s10, v4
	v_lshlrev_b64_e32 v[7:8], 1, v[1:2]
	s_delay_alu instid0(VALU_DEP_4) | instskip(SKIP_2) | instid1(VALU_DEP_3)
	v_add_co_u32 v5, vcc_lo, s8, v5
	s_wait_alu 0xfffd
	v_add_co_ci_u32_e64 v6, null, s9, v6, vcc_lo
	v_add_co_u32 v7, vcc_lo, s12, v7
	s_wait_alu 0xfffd
	v_add_co_ci_u32_e64 v8, null, s13, v8, vcc_lo
	global_load_u16 v1, v[5:6], off
	global_load_u16 v5, v[7:8], off
	s_wait_loadcnt 0x1
	v_lshlrev_b32_e32 v1, 16, v1
	s_wait_loadcnt 0x0
	v_lshlrev_b32_e32 v5, 16, v5
	s_delay_alu instid0(VALU_DEP_1) | instskip(NEXT) | instid1(VALU_DEP_1)
	v_add_f32_e32 v1, v1, v5
	v_bfe_u32 v5, v1, 16, 1
	v_cmp_o_f32_e32 vcc_lo, v1, v1
	s_delay_alu instid0(VALU_DEP_2) | instskip(NEXT) | instid1(VALU_DEP_1)
	v_add3_u32 v5, v1, v5, 0x7fff
	v_lshrrev_b32_e32 v5, 16, v5
	s_wait_alu 0xfffd
	s_delay_alu instid0(VALU_DEP_1) | instskip(SKIP_1) | instid1(VALU_DEP_2)
	v_cndmask_b32_e32 v1, 0x7fc0, v5, vcc_lo
	v_cmp_le_i32_e32 vcc_lo, s11, v4
	v_lshlrev_b32_e32 v5, 16, v1
	s_or_b32 s18, vcc_lo, s18
	global_store_b16 v[7:8], v1, off
	v_fmac_f32_e32 v3, v5, v5
	s_and_not1_b32 exec_lo, exec_lo, s18
	s_cbranch_execnz .LBB16_4
; %bb.5:
	s_or_b32 exec_lo, exec_lo, s18
	v_dual_mov_b32 v1, ttmp9 :: v_dual_mov_b32 v4, s10
.LBB16_6:
	s_or_b32 exec_lo, exec_lo, s3
	v_mbcnt_lo_u32_b32 v2, -1, 0
	s_mov_b32 s3, exec_lo
	s_delay_alu instid0(VALU_DEP_1) | instskip(SKIP_3) | instid1(VALU_DEP_2)
	v_cmp_ne_u32_e32 vcc_lo, 63, v2
	s_wait_alu 0xfffd
	v_add_co_ci_u32_e64 v5, null, 0, v2, vcc_lo
	v_cmp_gt_u32_e32 vcc_lo, 62, v2
	v_lshlrev_b32_e32 v5, 2, v5
	s_wait_alu 0xfffd
	v_cndmask_b32_e64 v7, 0, 2, vcc_lo
	ds_bpermute_b32 v5, v5, v3
	v_and_b32_e32 v6, 0x3c0, v0
	v_add_lshl_u32 v7, v7, v2, 2
	s_wait_dscnt 0x0
	v_add_f32_e32 v5, v3, v5
	s_delay_alu instid0(VALU_DEP_3) | instskip(SKIP_1) | instid1(VALU_DEP_1)
	v_sub_nc_u32_e64 v6, v4, v6 clamp
	v_add_nc_u32_e32 v8, 1, v2
	v_cmp_lt_u32_e32 vcc_lo, v8, v6
	s_wait_alu 0xfffd
	v_cndmask_b32_e32 v3, v3, v5, vcc_lo
	v_cmp_gt_u32_e32 vcc_lo, 60, v2
	ds_bpermute_b32 v5, v7, v3
	v_add_nc_u32_e32 v8, 2, v2
	s_wait_alu 0xfffd
	v_cndmask_b32_e64 v7, 0, 4, vcc_lo
	s_delay_alu instid0(VALU_DEP_1) | instskip(SKIP_4) | instid1(VALU_DEP_2)
	v_add_lshl_u32 v7, v7, v2, 2
	s_wait_dscnt 0x0
	v_add_f32_e32 v5, v3, v5
	v_cmp_lt_u32_e32 vcc_lo, v8, v6
	s_wait_alu 0xfffd
	v_dual_cndmask_b32 v3, v3, v5 :: v_dual_add_nc_u32 v8, 4, v2
	v_cmp_gt_u32_e32 vcc_lo, 56, v2
	ds_bpermute_b32 v5, v7, v3
	s_wait_alu 0xfffd
	v_cndmask_b32_e64 v7, 0, 8, vcc_lo
	v_cmp_lt_u32_e32 vcc_lo, v8, v6
	v_add_nc_u32_e32 v8, 8, v2
	s_delay_alu instid0(VALU_DEP_3) | instskip(SKIP_3) | instid1(VALU_DEP_1)
	v_add_lshl_u32 v7, v7, v2, 2
	s_wait_dscnt 0x0
	v_add_f32_e32 v5, v3, v5
	s_wait_alu 0xfffd
	v_cndmask_b32_e32 v3, v3, v5, vcc_lo
	v_cmp_gt_u32_e32 vcc_lo, 48, v2
	ds_bpermute_b32 v5, v7, v3
	s_wait_alu 0xfffd
	v_cndmask_b32_e64 v7, 0, 16, vcc_lo
	v_cmp_lt_u32_e32 vcc_lo, v8, v6
	s_delay_alu instid0(VALU_DEP_2) | instskip(SKIP_3) | instid1(VALU_DEP_1)
	v_add_lshl_u32 v7, v7, v2, 2
	s_wait_dscnt 0x0
	v_add_f32_e32 v5, v3, v5
	s_wait_alu 0xfffd
	v_cndmask_b32_e32 v5, v3, v5, vcc_lo
	ds_bpermute_b32 v3, v7, v5
	s_wait_dscnt 0x0
	v_dual_add_f32 v8, v5, v3 :: v_dual_add_nc_u32 v7, 16, v2
	s_delay_alu instid0(VALU_DEP_1) | instskip(SKIP_2) | instid1(VALU_DEP_3)
	v_cmp_lt_u32_e32 vcc_lo, v7, v6
	v_lshlrev_b32_e32 v3, 2, v2
	s_wait_alu 0xfffd
	v_cndmask_b32_e32 v5, v5, v8, vcc_lo
	v_or_b32_e32 v8, 32, v2
	ds_bpermute_b32 v7, v3, v5 offset:128
	v_cmp_lt_u32_e32 vcc_lo, v8, v6
	s_wait_dscnt 0x0
	v_add_f32_e32 v7, v5, v7
	s_wait_alu 0xfffd
	s_delay_alu instid0(VALU_DEP_1)
	v_cndmask_b32_e32 v5, v5, v7, vcc_lo
	v_cmpx_eq_u32_e32 0, v2
; %bb.7:
	v_lshrrev_b32_e32 v6, 4, v0
	s_delay_alu instid0(VALU_DEP_1)
	v_and_b32_e32 v6, 60, v6
	ds_store_b32 v6, v5
; %bb.8:
	s_or_b32 exec_lo, exec_lo, s3
	s_delay_alu instid0(SALU_CYCLE_1)
	s_mov_b32 s8, exec_lo
	s_wait_storecnt_dscnt 0x0
	s_barrier_signal -1
	s_barrier_wait -1
	global_inv scope:SCOPE_SE
	v_cmpx_gt_u32_e32 16, v0
	s_cbranch_execz .LBB16_10
; %bb.9:
	ds_load_b32 v5, v3
	v_and_b32_e32 v6, 15, v2
	v_or_b32_e32 v3, 32, v3
	s_delay_alu instid0(VALU_DEP_2) | instskip(SKIP_2) | instid1(VALU_DEP_1)
	v_cmp_ne_u32_e32 vcc_lo, 15, v6
	s_wait_alu 0xfffd
	v_add_co_ci_u32_e64 v7, null, 0, v2, vcc_lo
	v_lshlrev_b32_e32 v7, 2, v7
	s_wait_dscnt 0x0
	ds_bpermute_b32 v7, v7, v5
	s_wait_dscnt 0x0
	v_dual_add_f32 v7, v5, v7 :: v_dual_add_nc_u32 v8, 63, v4
	v_cmp_gt_u32_e32 vcc_lo, 14, v6
	v_add_nc_u32_e32 v10, 1, v6
	v_cmp_gt_u32_e64 s3, 12, v6
	v_add_nc_u32_e32 v11, 2, v6
	v_lshrrev_b32_e32 v8, 6, v8
	s_wait_alu 0xfffd
	v_cndmask_b32_e64 v9, 0, 2, vcc_lo
	s_delay_alu instid0(VALU_DEP_2) | instskip(NEXT) | instid1(VALU_DEP_2)
	v_cmp_lt_u32_e32 vcc_lo, v10, v8
	v_add_lshl_u32 v9, v9, v2, 2
	v_cndmask_b32_e64 v10, 0, 4, s3
	v_cmp_lt_u32_e64 s3, v11, v8
	s_wait_alu 0xfffd
	v_cndmask_b32_e32 v7, v5, v7, vcc_lo
	s_delay_alu instid0(VALU_DEP_3) | instskip(SKIP_4) | instid1(VALU_DEP_1)
	v_add_lshl_u32 v2, v10, v2, 2
	ds_bpermute_b32 v9, v9, v7
	s_wait_dscnt 0x0
	v_add_f32_e32 v9, v7, v9
	s_wait_alu 0xf1ff
	v_cndmask_b32_e64 v7, v7, v9, s3
	v_add_nc_u32_e32 v9, 4, v6
	ds_bpermute_b32 v2, v2, v7
	v_cmp_lt_u32_e64 s3, v9, v8
	s_wait_dscnt 0x0
	v_add_f32_e32 v2, v7, v2
	s_wait_alu 0xf1ff
	s_delay_alu instid0(VALU_DEP_1) | instskip(SKIP_3) | instid1(VALU_DEP_1)
	v_cndmask_b32_e64 v2, v7, v2, s3
	ds_bpermute_b32 v3, v3, v2
	s_wait_dscnt 0x0
	v_dual_add_f32 v3, v2, v3 :: v_dual_add_nc_u32 v6, 8, v6
	v_cmp_lt_u32_e64 s3, v6, v8
	s_wait_alu 0xf1ff
	s_delay_alu instid0(VALU_DEP_1) | instskip(NEXT) | instid1(VALU_DEP_1)
	v_cndmask_b32_e64 v2, v2, v3, s3
	v_cndmask_b32_e32 v5, v5, v2, vcc_lo
.LBB16_10:
	s_wait_alu 0xfffe
	s_or_b32 exec_lo, exec_lo, s8
	s_delay_alu instid0(SALU_CYCLE_1)
	s_mov_b32 s3, exec_lo
	v_cmpx_eq_u32_e32 0, v0
	s_cbranch_execz .LBB16_12
; %bb.11:
	s_cvt_f32_i32 s8, s11
	s_load_b32 s0, s[0:1], 0x30
	s_delay_alu instid0(SALU_CYCLE_2) | instskip(SKIP_1) | instid1(VALU_DEP_2)
	v_div_scale_f32 v2, null, s8, s8, v5
	v_div_scale_f32 v7, vcc_lo, v5, s8, v5
	v_rcp_f32_e32 v3, v2
	s_delay_alu instid0(TRANS32_DEP_1) | instskip(NEXT) | instid1(VALU_DEP_1)
	v_fma_f32 v6, -v2, v3, 1.0
	v_fmac_f32_e32 v3, v6, v3
	s_delay_alu instid0(VALU_DEP_1) | instskip(NEXT) | instid1(VALU_DEP_1)
	v_mul_f32_e32 v6, v7, v3
	v_fma_f32 v8, -v2, v6, v7
	s_delay_alu instid0(VALU_DEP_1) | instskip(NEXT) | instid1(VALU_DEP_1)
	v_fmac_f32_e32 v6, v8, v3
	v_fma_f32 v2, -v2, v6, v7
	s_wait_alu 0xfffd
	s_delay_alu instid0(VALU_DEP_1) | instskip(NEXT) | instid1(VALU_DEP_1)
	v_div_fmas_f32 v2, v2, v3, v6
	v_div_fixup_f32 v2, v2, s8, v5
	s_wait_kmcnt 0x0
	s_delay_alu instid0(VALU_DEP_1) | instskip(NEXT) | instid1(VALU_DEP_1)
	v_add_f32_e32 v2, s0, v2
	v_mul_f32_e32 v3, 0x4b800000, v2
	v_cmp_gt_f32_e32 vcc_lo, 0x800000, v2
	s_wait_alu 0xfffd
	s_delay_alu instid0(VALU_DEP_2) | instskip(NEXT) | instid1(VALU_DEP_1)
	v_cndmask_b32_e32 v2, v2, v3, vcc_lo
	v_rsq_f32_e32 v2, v2
	s_delay_alu instid0(TRANS32_DEP_1) | instskip(NEXT) | instid1(VALU_DEP_1)
	v_mul_f32_e32 v3, 0x45800000, v2
	v_dual_cndmask_b32 v2, v2, v3 :: v_dual_mov_b32 v3, 0
	ds_store_b32 v3, v2 offset:64
.LBB16_12:
	s_wait_alu 0xfffe
	s_or_b32 exec_lo, exec_lo, s3
	s_wait_loadcnt_dscnt 0x0
	s_barrier_signal -1
	s_barrier_wait -1
	global_inv scope:SCOPE_SE
	s_and_saveexec_b32 s0, s2
	s_cbranch_execz .LBB16_15
; %bb.13:
	s_wait_kmcnt 0x0
	s_load_b32 s0, s[6:7], 0x0
	s_mov_b32 s1, 0x43e00000
	s_wait_kmcnt 0x0
	v_div_scale_f32 v2, null, s0, s0, 1.0
	v_div_scale_f32 v7, vcc_lo, 1.0, s0, 1.0
	s_delay_alu instid0(VALU_DEP_2)
	v_rcp_f32_e32 v6, v2
	v_xor_b32_e32 v2, 0x80000000, v2
	s_delay_alu instid0(TRANS32_DEP_1) | instid1(VALU_DEP_1)
	v_fma_f32 v3, v2, v6, 1.0
	s_delay_alu instid0(VALU_DEP_1) | instskip(NEXT) | instid1(VALU_DEP_1)
	v_dual_fmac_f32 v6, v3, v6 :: v_dual_mov_b32 v3, 0
	v_mul_f32_e32 v8, v7, v6
	s_delay_alu instid0(VALU_DEP_1) | instskip(NEXT) | instid1(VALU_DEP_1)
	v_fma_f32 v5, v2, v8, v7
	v_fmac_f32_e32 v8, v5, v6
	ds_load_b32 v5, v3 offset:64
	v_fmac_f32_e32 v7, v2, v8
	s_wait_alu 0xfffd
	s_delay_alu instid0(VALU_DEP_1) | instskip(SKIP_1) | instid1(VALU_DEP_2)
	v_div_fmas_f32 v2, v7, v6, v8
	v_mul_lo_u32 v6, s11, v1
	v_div_fixup_f32 v7, v2, s0, 1.0
	s_mov_b32 s0, 0
.LBB16_14:                              ; =>This Inner Loop Header: Depth=1
	s_delay_alu instid0(VALU_DEP_2) | instskip(SKIP_1) | instid1(VALU_DEP_2)
	v_add_nc_u32_e32 v2, v6, v0
	v_ashrrev_i32_e32 v1, 31, v0
	v_lshlrev_b64_e32 v[8:9], 1, v[2:3]
	s_delay_alu instid0(VALU_DEP_1) | instskip(SKIP_1) | instid1(VALU_DEP_2)
	v_add_co_u32 v8, vcc_lo, s12, v8
	s_wait_alu 0xfffd
	v_add_co_ci_u32_e64 v9, null, s13, v9, vcc_lo
	global_load_u16 v10, v[8:9], off
	v_lshlrev_b64_e32 v[8:9], 1, v[0:1]
	v_add_nc_u32_e32 v0, v0, v4
	s_delay_alu instid0(VALU_DEP_2) | instskip(SKIP_1) | instid1(VALU_DEP_3)
	v_add_co_u32 v8, vcc_lo, s4, v8
	s_wait_alu 0xfffd
	v_add_co_ci_u32_e64 v9, null, s5, v9, vcc_lo
	global_load_u16 v1, v[8:9], off
	s_wait_loadcnt 0x1
	v_lshlrev_b32_e32 v8, 16, v10
	s_wait_dscnt 0x0
	s_delay_alu instid0(VALU_DEP_1) | instskip(NEXT) | instid1(VALU_DEP_1)
	v_mul_f32_e32 v8, v5, v8
	v_bfe_u32 v9, v8, 16, 1
	s_wait_loadcnt 0x0
	v_lshlrev_b32_e32 v1, 16, v1
	s_delay_alu instid0(VALU_DEP_2) | instskip(NEXT) | instid1(VALU_DEP_1)
	v_add3_u32 v9, v8, v9, 0x7fff
	v_and_b32_e32 v9, 0xffff0000, v9
	v_cmp_o_f32_e32 vcc_lo, v8, v8
	s_wait_alu 0xfffd
	s_delay_alu instid0(VALU_DEP_2) | instskip(NEXT) | instid1(VALU_DEP_1)
	v_dual_cndmask_b32 v8, 0x7fc00000, v9 :: v_dual_mov_b32 v9, v3
	v_mul_f32_e32 v1, v8, v1
	s_delay_alu instid0(VALU_DEP_1) | instskip(SKIP_1) | instid1(VALU_DEP_2)
	v_bfe_u32 v8, v1, 16, 1
	v_cmp_o_f32_e32 vcc_lo, v1, v1
	v_add3_u32 v8, v1, v8, 0x7fff
	s_delay_alu instid0(VALU_DEP_1) | instskip(SKIP_1) | instid1(VALU_DEP_1)
	v_and_b32_e32 v8, 0xffff0000, v8
	s_wait_alu 0xfffd
	v_cndmask_b32_e32 v1, 0x7fc00000, v8, vcc_lo
	s_delay_alu instid0(VALU_DEP_1) | instskip(SKIP_1) | instid1(VALU_DEP_1)
	v_mul_f32_e32 v1, v7, v1
	s_wait_alu 0xfffe
	v_minmax_num_f32 v1, v1, s1, 0xc3e00000
	s_delay_alu instid0(VALU_DEP_1) | instskip(SKIP_2) | instid1(VALU_DEP_2)
	v_med3_num_f32 v8, v1, s1, 0xc3e00000
	v_cmp_nlg_f32_e64 vcc_lo, 0x7f800000, |v1|
	s_wait_alu 0xfffd
	v_cndmask_b32_e32 v1, v8, v1, vcc_lo
	v_cmp_le_i32_e32 vcc_lo, s11, v0
	s_delay_alu instid0(VALU_DEP_2)
	v_cvt_pk_fp8_f32 v9, v1, v1
	s_or_b32 s0, vcc_lo, s0
	global_store_b8 v2, v9, s[14:15]
	s_wait_alu 0xfffe
	s_and_not1_b32 exec_lo, exec_lo, s0
	s_cbranch_execnz .LBB16_14
.LBB16_15:
	s_endpgm
	.section	.rodata,"a",@progbits
	.p2align	6, 0x0
	.amdhsa_kernel _ZN4vllm42fused_add_rms_norm_static_fp8_quant_kernelIN3c108BFloat16ELi0ENS1_13Float8_e4m3fnEEENSt9enable_ifIXooeqT0_Li0Entsr12_typeConvertIT_EE6existsEvE4typeEPT1_PS5_iSA_PKS5_PKffii
		.amdhsa_group_segment_fixed_size 68
		.amdhsa_private_segment_fixed_size 0
		.amdhsa_kernarg_size 320
		.amdhsa_user_sgpr_count 2
		.amdhsa_user_sgpr_dispatch_ptr 0
		.amdhsa_user_sgpr_queue_ptr 0
		.amdhsa_user_sgpr_kernarg_segment_ptr 1
		.amdhsa_user_sgpr_dispatch_id 0
		.amdhsa_user_sgpr_private_segment_size 0
		.amdhsa_wavefront_size32 1
		.amdhsa_uses_dynamic_stack 0
		.amdhsa_enable_private_segment 0
		.amdhsa_system_sgpr_workgroup_id_x 1
		.amdhsa_system_sgpr_workgroup_id_y 0
		.amdhsa_system_sgpr_workgroup_id_z 0
		.amdhsa_system_sgpr_workgroup_info 0
		.amdhsa_system_vgpr_workitem_id 0
		.amdhsa_next_free_vgpr 12
		.amdhsa_next_free_sgpr 19
		.amdhsa_reserve_vcc 1
		.amdhsa_float_round_mode_32 0
		.amdhsa_float_round_mode_16_64 0
		.amdhsa_float_denorm_mode_32 3
		.amdhsa_float_denorm_mode_16_64 3
		.amdhsa_fp16_overflow 0
		.amdhsa_workgroup_processor_mode 1
		.amdhsa_memory_ordered 1
		.amdhsa_forward_progress 1
		.amdhsa_inst_pref_size 15
		.amdhsa_round_robin_scheduling 0
		.amdhsa_exception_fp_ieee_invalid_op 0
		.amdhsa_exception_fp_denorm_src 0
		.amdhsa_exception_fp_ieee_div_zero 0
		.amdhsa_exception_fp_ieee_overflow 0
		.amdhsa_exception_fp_ieee_underflow 0
		.amdhsa_exception_fp_ieee_inexact 0
		.amdhsa_exception_int_div_zero 0
	.end_amdhsa_kernel
	.section	.text._ZN4vllm42fused_add_rms_norm_static_fp8_quant_kernelIN3c108BFloat16ELi0ENS1_13Float8_e4m3fnEEENSt9enable_ifIXooeqT0_Li0Entsr12_typeConvertIT_EE6existsEvE4typeEPT1_PS5_iSA_PKS5_PKffii,"axG",@progbits,_ZN4vllm42fused_add_rms_norm_static_fp8_quant_kernelIN3c108BFloat16ELi0ENS1_13Float8_e4m3fnEEENSt9enable_ifIXooeqT0_Li0Entsr12_typeConvertIT_EE6existsEvE4typeEPT1_PS5_iSA_PKS5_PKffii,comdat
.Lfunc_end16:
	.size	_ZN4vllm42fused_add_rms_norm_static_fp8_quant_kernelIN3c108BFloat16ELi0ENS1_13Float8_e4m3fnEEENSt9enable_ifIXooeqT0_Li0Entsr12_typeConvertIT_EE6existsEvE4typeEPT1_PS5_iSA_PKS5_PKffii, .Lfunc_end16-_ZN4vllm42fused_add_rms_norm_static_fp8_quant_kernelIN3c108BFloat16ELi0ENS1_13Float8_e4m3fnEEENSt9enable_ifIXooeqT0_Li0Entsr12_typeConvertIT_EE6existsEvE4typeEPT1_PS5_iSA_PKS5_PKffii
                                        ; -- End function
	.set _ZN4vllm42fused_add_rms_norm_static_fp8_quant_kernelIN3c108BFloat16ELi0ENS1_13Float8_e4m3fnEEENSt9enable_ifIXooeqT0_Li0Entsr12_typeConvertIT_EE6existsEvE4typeEPT1_PS5_iSA_PKS5_PKffii.num_vgpr, 12
	.set _ZN4vllm42fused_add_rms_norm_static_fp8_quant_kernelIN3c108BFloat16ELi0ENS1_13Float8_e4m3fnEEENSt9enable_ifIXooeqT0_Li0Entsr12_typeConvertIT_EE6existsEvE4typeEPT1_PS5_iSA_PKS5_PKffii.num_agpr, 0
	.set _ZN4vllm42fused_add_rms_norm_static_fp8_quant_kernelIN3c108BFloat16ELi0ENS1_13Float8_e4m3fnEEENSt9enable_ifIXooeqT0_Li0Entsr12_typeConvertIT_EE6existsEvE4typeEPT1_PS5_iSA_PKS5_PKffii.numbered_sgpr, 19
	.set _ZN4vllm42fused_add_rms_norm_static_fp8_quant_kernelIN3c108BFloat16ELi0ENS1_13Float8_e4m3fnEEENSt9enable_ifIXooeqT0_Li0Entsr12_typeConvertIT_EE6existsEvE4typeEPT1_PS5_iSA_PKS5_PKffii.num_named_barrier, 0
	.set _ZN4vllm42fused_add_rms_norm_static_fp8_quant_kernelIN3c108BFloat16ELi0ENS1_13Float8_e4m3fnEEENSt9enable_ifIXooeqT0_Li0Entsr12_typeConvertIT_EE6existsEvE4typeEPT1_PS5_iSA_PKS5_PKffii.private_seg_size, 0
	.set _ZN4vllm42fused_add_rms_norm_static_fp8_quant_kernelIN3c108BFloat16ELi0ENS1_13Float8_e4m3fnEEENSt9enable_ifIXooeqT0_Li0Entsr12_typeConvertIT_EE6existsEvE4typeEPT1_PS5_iSA_PKS5_PKffii.uses_vcc, 1
	.set _ZN4vllm42fused_add_rms_norm_static_fp8_quant_kernelIN3c108BFloat16ELi0ENS1_13Float8_e4m3fnEEENSt9enable_ifIXooeqT0_Li0Entsr12_typeConvertIT_EE6existsEvE4typeEPT1_PS5_iSA_PKS5_PKffii.uses_flat_scratch, 0
	.set _ZN4vllm42fused_add_rms_norm_static_fp8_quant_kernelIN3c108BFloat16ELi0ENS1_13Float8_e4m3fnEEENSt9enable_ifIXooeqT0_Li0Entsr12_typeConvertIT_EE6existsEvE4typeEPT1_PS5_iSA_PKS5_PKffii.has_dyn_sized_stack, 0
	.set _ZN4vllm42fused_add_rms_norm_static_fp8_quant_kernelIN3c108BFloat16ELi0ENS1_13Float8_e4m3fnEEENSt9enable_ifIXooeqT0_Li0Entsr12_typeConvertIT_EE6existsEvE4typeEPT1_PS5_iSA_PKS5_PKffii.has_recursion, 0
	.set _ZN4vllm42fused_add_rms_norm_static_fp8_quant_kernelIN3c108BFloat16ELi0ENS1_13Float8_e4m3fnEEENSt9enable_ifIXooeqT0_Li0Entsr12_typeConvertIT_EE6existsEvE4typeEPT1_PS5_iSA_PKS5_PKffii.has_indirect_call, 0
	.section	.AMDGPU.csdata,"",@progbits
; Kernel info:
; codeLenInByte = 1840
; TotalNumSgprs: 21
; NumVgprs: 12
; ScratchSize: 0
; MemoryBound: 0
; FloatMode: 240
; IeeeMode: 1
; LDSByteSize: 68 bytes/workgroup (compile time only)
; SGPRBlocks: 0
; VGPRBlocks: 1
; NumSGPRsForWavesPerEU: 21
; NumVGPRsForWavesPerEU: 12
; Occupancy: 16
; WaveLimiterHint : 0
; COMPUTE_PGM_RSRC2:SCRATCH_EN: 0
; COMPUTE_PGM_RSRC2:USER_SGPR: 2
; COMPUTE_PGM_RSRC2:TRAP_HANDLER: 0
; COMPUTE_PGM_RSRC2:TGID_X_EN: 1
; COMPUTE_PGM_RSRC2:TGID_Y_EN: 0
; COMPUTE_PGM_RSRC2:TGID_Z_EN: 0
; COMPUTE_PGM_RSRC2:TIDIG_COMP_CNT: 0
	.section	.text._ZN4vllm42fused_add_rms_norm_static_fp8_quant_kernelIN3c108BFloat16ELi0ENS1_15Float8_e4m3fnuzEEENSt9enable_ifIXooeqT0_Li0Entsr12_typeConvertIT_EE6existsEvE4typeEPT1_PS5_iSA_PKS5_PKffii,"axG",@progbits,_ZN4vllm42fused_add_rms_norm_static_fp8_quant_kernelIN3c108BFloat16ELi0ENS1_15Float8_e4m3fnuzEEENSt9enable_ifIXooeqT0_Li0Entsr12_typeConvertIT_EE6existsEvE4typeEPT1_PS5_iSA_PKS5_PKffii,comdat
	.protected	_ZN4vllm42fused_add_rms_norm_static_fp8_quant_kernelIN3c108BFloat16ELi0ENS1_15Float8_e4m3fnuzEEENSt9enable_ifIXooeqT0_Li0Entsr12_typeConvertIT_EE6existsEvE4typeEPT1_PS5_iSA_PKS5_PKffii ; -- Begin function _ZN4vllm42fused_add_rms_norm_static_fp8_quant_kernelIN3c108BFloat16ELi0ENS1_15Float8_e4m3fnuzEEENSt9enable_ifIXooeqT0_Li0Entsr12_typeConvertIT_EE6existsEvE4typeEPT1_PS5_iSA_PKS5_PKffii
	.globl	_ZN4vllm42fused_add_rms_norm_static_fp8_quant_kernelIN3c108BFloat16ELi0ENS1_15Float8_e4m3fnuzEEENSt9enable_ifIXooeqT0_Li0Entsr12_typeConvertIT_EE6existsEvE4typeEPT1_PS5_iSA_PKS5_PKffii
	.p2align	8
	.type	_ZN4vllm42fused_add_rms_norm_static_fp8_quant_kernelIN3c108BFloat16ELi0ENS1_15Float8_e4m3fnuzEEENSt9enable_ifIXooeqT0_Li0Entsr12_typeConvertIT_EE6existsEvE4typeEPT1_PS5_iSA_PKS5_PKffii,@function
_ZN4vllm42fused_add_rms_norm_static_fp8_quant_kernelIN3c108BFloat16ELi0ENS1_15Float8_e4m3fnuzEEENSt9enable_ifIXooeqT0_Li0Entsr12_typeConvertIT_EE6existsEvE4typeEPT1_PS5_iSA_PKS5_PKffii: ; @_ZN4vllm42fused_add_rms_norm_static_fp8_quant_kernelIN3c108BFloat16ELi0ENS1_15Float8_e4m3fnuzEEENSt9enable_ifIXooeqT0_Li0Entsr12_typeConvertIT_EE6existsEvE4typeEPT1_PS5_iSA_PKS5_PKffii
; %bb.0:
	s_load_b32 s7, s[0:1], 0x38
	s_mov_b32 s3, exec_lo
                                        ; implicit-def: $sgpr4
	s_wait_kmcnt 0x0
	v_cmp_gt_i32_e64 s2, s7, v0
	v_cmpx_le_i32_e64 s7, v0
	s_xor_b32 s3, exec_lo, s3
	s_cbranch_execz .LBB17_2
; %bb.1:
	s_load_b32 s4, s[0:1], 0x4c
	s_wait_kmcnt 0x0
	s_and_b32 s4, s4, 0xffff
.LBB17_2:
	s_or_saveexec_b32 s3, s3
	v_dual_mov_b32 v3, 0 :: v_dual_mov_b32 v2, s4
	s_xor_b32 exec_lo, exec_lo, s3
	s_cbranch_execz .LBB17_6
; %bb.3:
	s_clause 0x2
	s_load_b96 s[4:6], s[0:1], 0x8
	s_load_b32 s12, s[0:1], 0x4c
	s_load_b64 s[8:9], s[0:1], 0x18
	v_dual_mov_b32 v2, 0 :: v_dual_mov_b32 v3, 0
	v_mov_b32_e32 v4, v0
	s_mul_i32 s10, s7, ttmp9
	s_wait_kmcnt 0x0
	s_mul_i32 s11, s6, ttmp9
	s_and_b32 s6, s12, 0xffff
	s_mov_b32 s12, 0
.LBB17_4:                               ; =>This Inner Loop Header: Depth=1
	v_add_nc_u32_e32 v1, s11, v4
	s_delay_alu instid0(VALU_DEP_1) | instskip(SKIP_3) | instid1(VALU_DEP_2)
	v_lshlrev_b64_e32 v[5:6], 1, v[1:2]
	v_add_nc_u32_e32 v1, s10, v4
	s_wait_alu 0xfffe
	v_add_nc_u32_e32 v4, s6, v4
	v_lshlrev_b64_e32 v[7:8], 1, v[1:2]
	s_delay_alu instid0(VALU_DEP_4) | instskip(SKIP_2) | instid1(VALU_DEP_3)
	v_add_co_u32 v5, vcc_lo, s4, v5
	s_wait_alu 0xfffd
	v_add_co_ci_u32_e64 v6, null, s5, v6, vcc_lo
	v_add_co_u32 v7, vcc_lo, s8, v7
	s_wait_alu 0xfffd
	v_add_co_ci_u32_e64 v8, null, s9, v8, vcc_lo
	global_load_u16 v1, v[5:6], off
	global_load_u16 v5, v[7:8], off
	s_wait_loadcnt 0x1
	v_lshlrev_b32_e32 v1, 16, v1
	s_wait_loadcnt 0x0
	v_lshlrev_b32_e32 v5, 16, v5
	s_delay_alu instid0(VALU_DEP_1) | instskip(NEXT) | instid1(VALU_DEP_1)
	v_add_f32_e32 v1, v1, v5
	v_bfe_u32 v5, v1, 16, 1
	v_cmp_o_f32_e32 vcc_lo, v1, v1
	s_delay_alu instid0(VALU_DEP_2) | instskip(NEXT) | instid1(VALU_DEP_1)
	v_add3_u32 v5, v1, v5, 0x7fff
	v_lshrrev_b32_e32 v5, 16, v5
	s_wait_alu 0xfffd
	s_delay_alu instid0(VALU_DEP_1) | instskip(SKIP_1) | instid1(VALU_DEP_2)
	v_cndmask_b32_e32 v1, 0x7fc0, v5, vcc_lo
	v_cmp_le_i32_e32 vcc_lo, s7, v4
	v_lshlrev_b32_e32 v5, 16, v1
	s_or_b32 s12, vcc_lo, s12
	global_store_b16 v[7:8], v1, off
	v_fmac_f32_e32 v3, v5, v5
	s_and_not1_b32 exec_lo, exec_lo, s12
	s_cbranch_execnz .LBB17_4
; %bb.5:
	s_or_b32 exec_lo, exec_lo, s12
	v_mov_b32_e32 v2, s6
.LBB17_6:
	s_or_b32 exec_lo, exec_lo, s3
	v_mbcnt_lo_u32_b32 v1, -1, 0
	v_and_b32_e32 v5, 0x3c0, v0
	s_mov_b32 s3, exec_lo
	s_delay_alu instid0(VALU_DEP_2) | instskip(NEXT) | instid1(VALU_DEP_2)
	v_cmp_ne_u32_e32 vcc_lo, 63, v1
	v_sub_nc_u32_e64 v5, v2, v5 clamp
	s_wait_alu 0xfffd
	v_add_co_ci_u32_e64 v4, null, 0, v1, vcc_lo
	v_cmp_gt_u32_e32 vcc_lo, 62, v1
	s_delay_alu instid0(VALU_DEP_2)
	v_lshlrev_b32_e32 v4, 2, v4
	s_wait_alu 0xfffd
	v_cndmask_b32_e64 v6, 0, 2, vcc_lo
	ds_bpermute_b32 v4, v4, v3
	v_add_nc_u32_e32 v7, 1, v1
	v_add_lshl_u32 v6, v6, v1, 2
	s_wait_dscnt 0x0
	v_add_f32_e32 v4, v3, v4
	s_delay_alu instid0(VALU_DEP_3) | instskip(SKIP_1) | instid1(VALU_DEP_2)
	v_cmp_lt_u32_e32 vcc_lo, v7, v5
	s_wait_alu 0xfffd
	v_cndmask_b32_e32 v3, v3, v4, vcc_lo
	v_cmp_gt_u32_e32 vcc_lo, 60, v1
	ds_bpermute_b32 v4, v6, v3
	v_add_nc_u32_e32 v7, 2, v1
	s_wait_alu 0xfffd
	v_cndmask_b32_e64 v6, 0, 4, vcc_lo
	s_delay_alu instid0(VALU_DEP_1) | instskip(SKIP_4) | instid1(VALU_DEP_2)
	v_add_lshl_u32 v6, v6, v1, 2
	s_wait_dscnt 0x0
	v_add_f32_e32 v4, v3, v4
	v_cmp_lt_u32_e32 vcc_lo, v7, v5
	s_wait_alu 0xfffd
	v_cndmask_b32_e32 v3, v3, v4, vcc_lo
	v_cmp_gt_u32_e32 vcc_lo, 56, v1
	ds_bpermute_b32 v4, v6, v3
	v_add_nc_u32_e32 v7, 4, v1
	s_wait_alu 0xfffd
	v_cndmask_b32_e64 v6, 0, 8, vcc_lo
	s_delay_alu instid0(VALU_DEP_1) | instskip(SKIP_4) | instid1(VALU_DEP_2)
	v_add_lshl_u32 v6, v6, v1, 2
	s_wait_dscnt 0x0
	v_add_f32_e32 v4, v3, v4
	;; [unrolled: 12-line block ×3, first 2 shown]
	v_cmp_lt_u32_e32 vcc_lo, v7, v5
	s_wait_alu 0xfffd
	v_cndmask_b32_e32 v4, v3, v4, vcc_lo
	ds_bpermute_b32 v3, v6, v4
	v_add_nc_u32_e32 v6, 16, v1
	s_delay_alu instid0(VALU_DEP_1) | instskip(SKIP_3) | instid1(VALU_DEP_1)
	v_cmp_lt_u32_e32 vcc_lo, v6, v5
	s_wait_dscnt 0x0
	v_add_f32_e32 v7, v4, v3
	s_wait_alu 0xfffd
	v_dual_cndmask_b32 v4, v4, v7 :: v_dual_lshlrev_b32 v3, 2, v1
	v_or_b32_e32 v7, 32, v1
	ds_bpermute_b32 v6, v3, v4 offset:128
	v_cmp_lt_u32_e32 vcc_lo, v7, v5
	s_wait_dscnt 0x0
	v_add_f32_e32 v6, v4, v6
	s_wait_alu 0xfffd
	s_delay_alu instid0(VALU_DEP_1)
	v_cndmask_b32_e32 v4, v4, v6, vcc_lo
	v_cmpx_eq_u32_e32 0, v1
; %bb.7:
	v_lshrrev_b32_e32 v5, 4, v0
	s_delay_alu instid0(VALU_DEP_1)
	v_and_b32_e32 v5, 60, v5
	ds_store_b32 v5, v4
; %bb.8:
	s_or_b32 exec_lo, exec_lo, s3
	s_delay_alu instid0(SALU_CYCLE_1)
	s_mov_b32 s4, exec_lo
	s_wait_storecnt_dscnt 0x0
	s_barrier_signal -1
	s_barrier_wait -1
	global_inv scope:SCOPE_SE
	v_cmpx_gt_u32_e32 16, v0
	s_cbranch_execz .LBB17_10
; %bb.9:
	ds_load_b32 v4, v3
	v_and_b32_e32 v5, 15, v1
	v_add_nc_u32_e32 v2, 63, v2
	v_or_b32_e32 v3, 32, v3
	s_delay_alu instid0(VALU_DEP_3) | instskip(NEXT) | instid1(VALU_DEP_3)
	v_cmp_ne_u32_e32 vcc_lo, 15, v5
	v_lshrrev_b32_e32 v2, 6, v2
	s_wait_alu 0xfffd
	v_add_co_ci_u32_e64 v6, null, 0, v1, vcc_lo
	s_delay_alu instid0(VALU_DEP_1)
	v_lshlrev_b32_e32 v6, 2, v6
	s_wait_dscnt 0x0
	ds_bpermute_b32 v6, v6, v4
	s_wait_dscnt 0x0
	v_add_f32_e32 v6, v4, v6
	v_cmp_gt_u32_e32 vcc_lo, 14, v5
	v_add_nc_u32_e32 v8, 1, v5
	v_cmp_gt_u32_e64 s3, 12, v5
	v_add_nc_u32_e32 v9, 2, v5
	s_wait_alu 0xfffd
	v_cndmask_b32_e64 v7, 0, 2, vcc_lo
	v_cmp_lt_u32_e32 vcc_lo, v8, v2
	v_cndmask_b32_e64 v8, 0, 4, s3
	v_cmp_lt_u32_e64 s3, v9, v2
	s_delay_alu instid0(VALU_DEP_4)
	v_add_lshl_u32 v7, v7, v1, 2
	s_wait_alu 0xfffd
	v_cndmask_b32_e32 v6, v4, v6, vcc_lo
	v_add_lshl_u32 v1, v8, v1, 2
	ds_bpermute_b32 v7, v7, v6
	s_wait_dscnt 0x0
	v_add_f32_e32 v7, v6, v7
	s_wait_alu 0xf1ff
	s_delay_alu instid0(VALU_DEP_1)
	v_cndmask_b32_e64 v6, v6, v7, s3
	v_add_nc_u32_e32 v7, 4, v5
	v_add_nc_u32_e32 v5, 8, v5
	ds_bpermute_b32 v1, v1, v6
	v_cmp_lt_u32_e64 s3, v7, v2
	s_wait_dscnt 0x0
	v_add_f32_e32 v1, v6, v1
	s_wait_alu 0xf1ff
	s_delay_alu instid0(VALU_DEP_1)
	v_cndmask_b32_e64 v1, v6, v1, s3
	v_cmp_lt_u32_e64 s3, v5, v2
	ds_bpermute_b32 v3, v3, v1
	s_wait_dscnt 0x0
	v_add_f32_e32 v3, v1, v3
	s_wait_alu 0xf1ff
	s_delay_alu instid0(VALU_DEP_1) | instskip(NEXT) | instid1(VALU_DEP_1)
	v_cndmask_b32_e64 v1, v1, v3, s3
	v_cndmask_b32_e32 v4, v4, v1, vcc_lo
.LBB17_10:
	s_wait_alu 0xfffe
	s_or_b32 exec_lo, exec_lo, s4
	s_delay_alu instid0(SALU_CYCLE_1)
	s_mov_b32 s3, exec_lo
	v_cmpx_eq_u32_e32 0, v0
	s_cbranch_execz .LBB17_12
; %bb.11:
	s_cvt_f32_i32 s4, s7
	s_load_b32 s0, s[0:1], 0x30
	s_delay_alu instid0(SALU_CYCLE_2) | instskip(SKIP_1) | instid1(VALU_DEP_2)
	v_div_scale_f32 v0, null, s4, s4, v4
	v_div_scale_f32 v3, vcc_lo, v4, s4, v4
	v_rcp_f32_e32 v1, v0
	s_delay_alu instid0(TRANS32_DEP_1) | instskip(NEXT) | instid1(VALU_DEP_1)
	v_fma_f32 v2, -v0, v1, 1.0
	v_fmac_f32_e32 v1, v2, v1
	s_delay_alu instid0(VALU_DEP_1) | instskip(NEXT) | instid1(VALU_DEP_1)
	v_mul_f32_e32 v2, v3, v1
	v_fma_f32 v5, -v0, v2, v3
	s_delay_alu instid0(VALU_DEP_1) | instskip(NEXT) | instid1(VALU_DEP_1)
	v_fmac_f32_e32 v2, v5, v1
	v_fma_f32 v0, -v0, v2, v3
	s_wait_alu 0xfffd
	s_delay_alu instid0(VALU_DEP_1) | instskip(NEXT) | instid1(VALU_DEP_1)
	v_div_fmas_f32 v0, v0, v1, v2
	v_div_fixup_f32 v0, v0, s4, v4
	s_wait_kmcnt 0x0
	s_delay_alu instid0(VALU_DEP_1) | instskip(NEXT) | instid1(VALU_DEP_1)
	v_add_f32_e32 v0, s0, v0
	v_mul_f32_e32 v1, 0x4b800000, v0
	v_cmp_gt_f32_e32 vcc_lo, 0x800000, v0
	s_wait_alu 0xfffd
	s_delay_alu instid0(VALU_DEP_2) | instskip(NEXT) | instid1(VALU_DEP_1)
	v_cndmask_b32_e32 v0, v0, v1, vcc_lo
	v_rsq_f32_e32 v0, v0
	s_delay_alu instid0(TRANS32_DEP_1) | instskip(NEXT) | instid1(VALU_DEP_1)
	v_mul_f32_e32 v1, 0x45800000, v0
	v_dual_cndmask_b32 v0, v0, v1 :: v_dual_mov_b32 v1, 0
	ds_store_b32 v1, v0 offset:64
.LBB17_12:
	s_wait_alu 0xfffe
	s_or_b32 exec_lo, exec_lo, s3
	s_wait_loadcnt_dscnt 0x0
	s_barrier_signal -1
	s_barrier_wait -1
	global_inv scope:SCOPE_SE
	s_and_saveexec_b32 s0, s2
	s_cbranch_execnz .LBB17_14
; %bb.13:
	s_endpgm
.LBB17_14:
	s_trap 2
	; divergent unreachable
	s_endpgm
	.section	.rodata,"a",@progbits
	.p2align	6, 0x0
	.amdhsa_kernel _ZN4vllm42fused_add_rms_norm_static_fp8_quant_kernelIN3c108BFloat16ELi0ENS1_15Float8_e4m3fnuzEEENSt9enable_ifIXooeqT0_Li0Entsr12_typeConvertIT_EE6existsEvE4typeEPT1_PS5_iSA_PKS5_PKffii
		.amdhsa_group_segment_fixed_size 68
		.amdhsa_private_segment_fixed_size 0
		.amdhsa_kernarg_size 320
		.amdhsa_user_sgpr_count 2
		.amdhsa_user_sgpr_dispatch_ptr 0
		.amdhsa_user_sgpr_queue_ptr 0
		.amdhsa_user_sgpr_kernarg_segment_ptr 1
		.amdhsa_user_sgpr_dispatch_id 0
		.amdhsa_user_sgpr_private_segment_size 0
		.amdhsa_wavefront_size32 1
		.amdhsa_uses_dynamic_stack 0
		.amdhsa_enable_private_segment 0
		.amdhsa_system_sgpr_workgroup_id_x 1
		.amdhsa_system_sgpr_workgroup_id_y 0
		.amdhsa_system_sgpr_workgroup_id_z 0
		.amdhsa_system_sgpr_workgroup_info 0
		.amdhsa_system_vgpr_workitem_id 0
		.amdhsa_next_free_vgpr 10
		.amdhsa_next_free_sgpr 13
		.amdhsa_reserve_vcc 1
		.amdhsa_float_round_mode_32 0
		.amdhsa_float_round_mode_16_64 0
		.amdhsa_float_denorm_mode_32 3
		.amdhsa_float_denorm_mode_16_64 3
		.amdhsa_fp16_overflow 0
		.amdhsa_workgroup_processor_mode 1
		.amdhsa_memory_ordered 1
		.amdhsa_forward_progress 1
		.amdhsa_inst_pref_size 11
		.amdhsa_round_robin_scheduling 0
		.amdhsa_exception_fp_ieee_invalid_op 0
		.amdhsa_exception_fp_denorm_src 0
		.amdhsa_exception_fp_ieee_div_zero 0
		.amdhsa_exception_fp_ieee_overflow 0
		.amdhsa_exception_fp_ieee_underflow 0
		.amdhsa_exception_fp_ieee_inexact 0
		.amdhsa_exception_int_div_zero 0
	.end_amdhsa_kernel
	.section	.text._ZN4vllm42fused_add_rms_norm_static_fp8_quant_kernelIN3c108BFloat16ELi0ENS1_15Float8_e4m3fnuzEEENSt9enable_ifIXooeqT0_Li0Entsr12_typeConvertIT_EE6existsEvE4typeEPT1_PS5_iSA_PKS5_PKffii,"axG",@progbits,_ZN4vllm42fused_add_rms_norm_static_fp8_quant_kernelIN3c108BFloat16ELi0ENS1_15Float8_e4m3fnuzEEENSt9enable_ifIXooeqT0_Li0Entsr12_typeConvertIT_EE6existsEvE4typeEPT1_PS5_iSA_PKS5_PKffii,comdat
.Lfunc_end17:
	.size	_ZN4vllm42fused_add_rms_norm_static_fp8_quant_kernelIN3c108BFloat16ELi0ENS1_15Float8_e4m3fnuzEEENSt9enable_ifIXooeqT0_Li0Entsr12_typeConvertIT_EE6existsEvE4typeEPT1_PS5_iSA_PKS5_PKffii, .Lfunc_end17-_ZN4vllm42fused_add_rms_norm_static_fp8_quant_kernelIN3c108BFloat16ELi0ENS1_15Float8_e4m3fnuzEEENSt9enable_ifIXooeqT0_Li0Entsr12_typeConvertIT_EE6existsEvE4typeEPT1_PS5_iSA_PKS5_PKffii
                                        ; -- End function
	.set _ZN4vllm42fused_add_rms_norm_static_fp8_quant_kernelIN3c108BFloat16ELi0ENS1_15Float8_e4m3fnuzEEENSt9enable_ifIXooeqT0_Li0Entsr12_typeConvertIT_EE6existsEvE4typeEPT1_PS5_iSA_PKS5_PKffii.num_vgpr, 10
	.set _ZN4vllm42fused_add_rms_norm_static_fp8_quant_kernelIN3c108BFloat16ELi0ENS1_15Float8_e4m3fnuzEEENSt9enable_ifIXooeqT0_Li0Entsr12_typeConvertIT_EE6existsEvE4typeEPT1_PS5_iSA_PKS5_PKffii.num_agpr, 0
	.set _ZN4vllm42fused_add_rms_norm_static_fp8_quant_kernelIN3c108BFloat16ELi0ENS1_15Float8_e4m3fnuzEEENSt9enable_ifIXooeqT0_Li0Entsr12_typeConvertIT_EE6existsEvE4typeEPT1_PS5_iSA_PKS5_PKffii.numbered_sgpr, 13
	.set _ZN4vllm42fused_add_rms_norm_static_fp8_quant_kernelIN3c108BFloat16ELi0ENS1_15Float8_e4m3fnuzEEENSt9enable_ifIXooeqT0_Li0Entsr12_typeConvertIT_EE6existsEvE4typeEPT1_PS5_iSA_PKS5_PKffii.num_named_barrier, 0
	.set _ZN4vllm42fused_add_rms_norm_static_fp8_quant_kernelIN3c108BFloat16ELi0ENS1_15Float8_e4m3fnuzEEENSt9enable_ifIXooeqT0_Li0Entsr12_typeConvertIT_EE6existsEvE4typeEPT1_PS5_iSA_PKS5_PKffii.private_seg_size, 0
	.set _ZN4vllm42fused_add_rms_norm_static_fp8_quant_kernelIN3c108BFloat16ELi0ENS1_15Float8_e4m3fnuzEEENSt9enable_ifIXooeqT0_Li0Entsr12_typeConvertIT_EE6existsEvE4typeEPT1_PS5_iSA_PKS5_PKffii.uses_vcc, 1
	.set _ZN4vllm42fused_add_rms_norm_static_fp8_quant_kernelIN3c108BFloat16ELi0ENS1_15Float8_e4m3fnuzEEENSt9enable_ifIXooeqT0_Li0Entsr12_typeConvertIT_EE6existsEvE4typeEPT1_PS5_iSA_PKS5_PKffii.uses_flat_scratch, 0
	.set _ZN4vllm42fused_add_rms_norm_static_fp8_quant_kernelIN3c108BFloat16ELi0ENS1_15Float8_e4m3fnuzEEENSt9enable_ifIXooeqT0_Li0Entsr12_typeConvertIT_EE6existsEvE4typeEPT1_PS5_iSA_PKS5_PKffii.has_dyn_sized_stack, 0
	.set _ZN4vllm42fused_add_rms_norm_static_fp8_quant_kernelIN3c108BFloat16ELi0ENS1_15Float8_e4m3fnuzEEENSt9enable_ifIXooeqT0_Li0Entsr12_typeConvertIT_EE6existsEvE4typeEPT1_PS5_iSA_PKS5_PKffii.has_recursion, 0
	.set _ZN4vllm42fused_add_rms_norm_static_fp8_quant_kernelIN3c108BFloat16ELi0ENS1_15Float8_e4m3fnuzEEENSt9enable_ifIXooeqT0_Li0Entsr12_typeConvertIT_EE6existsEvE4typeEPT1_PS5_iSA_PKS5_PKffii.has_indirect_call, 0
	.section	.AMDGPU.csdata,"",@progbits
; Kernel info:
; codeLenInByte = 1332
; TotalNumSgprs: 15
; NumVgprs: 10
; ScratchSize: 0
; MemoryBound: 0
; FloatMode: 240
; IeeeMode: 1
; LDSByteSize: 68 bytes/workgroup (compile time only)
; SGPRBlocks: 0
; VGPRBlocks: 1
; NumSGPRsForWavesPerEU: 15
; NumVGPRsForWavesPerEU: 10
; Occupancy: 16
; WaveLimiterHint : 0
; COMPUTE_PGM_RSRC2:SCRATCH_EN: 0
; COMPUTE_PGM_RSRC2:USER_SGPR: 2
; COMPUTE_PGM_RSRC2:TRAP_HANDLER: 0
; COMPUTE_PGM_RSRC2:TGID_X_EN: 1
; COMPUTE_PGM_RSRC2:TGID_Y_EN: 0
; COMPUTE_PGM_RSRC2:TGID_Z_EN: 0
; COMPUTE_PGM_RSRC2:TIDIG_COMP_CNT: 0
	.section	.AMDGPU.gpr_maximums,"",@progbits
	.set amdgpu.max_num_vgpr, 0
	.set amdgpu.max_num_agpr, 0
	.set amdgpu.max_num_sgpr, 0
	.section	.AMDGPU.csdata,"",@progbits
	.type	__hip_cuid_4d7b575a1002b73f,@object ; @__hip_cuid_4d7b575a1002b73f
	.section	.bss,"aw",@nobits
	.globl	__hip_cuid_4d7b575a1002b73f
__hip_cuid_4d7b575a1002b73f:
	.byte	0                               ; 0x0
	.size	__hip_cuid_4d7b575a1002b73f, 1

	.ident	"AMD clang version 22.0.0git (https://github.com/RadeonOpenCompute/llvm-project roc-7.2.4 26084 f58b06dce1f9c15707c5f808fd002e18c2accf7e)"
	.section	".note.GNU-stack","",@progbits
	.addrsig
	.addrsig_sym __hip_cuid_4d7b575a1002b73f
	.amdgpu_metadata
---
amdhsa.kernels:
  - .args:
      - .actual_access:  write_only
        .address_space:  global
        .offset:         0
        .size:           8
        .value_kind:     global_buffer
      - .actual_access:  read_only
        .address_space:  global
        .offset:         8
        .size:           8
        .value_kind:     global_buffer
      - .offset:         16
        .size:           4
        .value_kind:     by_value
      - .actual_access:  read_only
        .address_space:  global
        .offset:         24
        .size:           8
        .value_kind:     global_buffer
      - .actual_access:  read_only
        .address_space:  global
        .offset:         32
        .size:           8
        .value_kind:     global_buffer
      - .offset:         40
        .size:           4
        .value_kind:     by_value
      - .offset:         44
        .size:           4
        .value_kind:     by_value
      - .offset:         48
        .size:           4
        .value_kind:     by_value
      - .offset:         56
        .size:           4
        .value_kind:     hidden_block_count_x
      - .offset:         60
        .size:           4
        .value_kind:     hidden_block_count_y
      - .offset:         64
        .size:           4
        .value_kind:     hidden_block_count_z
      - .offset:         68
        .size:           2
        .value_kind:     hidden_group_size_x
      - .offset:         70
        .size:           2
        .value_kind:     hidden_group_size_y
      - .offset:         72
        .size:           2
        .value_kind:     hidden_group_size_z
      - .offset:         74
        .size:           2
        .value_kind:     hidden_remainder_x
      - .offset:         76
        .size:           2
        .value_kind:     hidden_remainder_y
      - .offset:         78
        .size:           2
        .value_kind:     hidden_remainder_z
      - .offset:         96
        .size:           8
        .value_kind:     hidden_global_offset_x
      - .offset:         104
        .size:           8
        .value_kind:     hidden_global_offset_y
      - .offset:         112
        .size:           8
        .value_kind:     hidden_global_offset_z
      - .offset:         120
        .size:           2
        .value_kind:     hidden_grid_dims
    .group_segment_fixed_size: 68
    .kernarg_segment_align: 8
    .kernarg_segment_size: 312
    .language:       OpenCL C
    .language_version:
      - 2
      - 0
    .max_flat_workgroup_size: 1024
    .name:           _ZN4vllm32rms_norm_static_fp8_quant_kernelIfN3c1013Float8_e4m3fnEEEvPT0_PKT_iS7_PKffii
    .private_segment_fixed_size: 0
    .sgpr_count:     19
    .sgpr_spill_count: 0
    .symbol:         _ZN4vllm32rms_norm_static_fp8_quant_kernelIfN3c1013Float8_e4m3fnEEEvPT0_PKT_iS7_PKffii.kd
    .uniform_work_group_size: 1
    .uses_dynamic_stack: false
    .vgpr_count:     12
    .vgpr_spill_count: 0
    .wavefront_size: 32
    .workgroup_processor_mode: 1
  - .args:
      - .actual_access:  read_only
        .address_space:  global
        .offset:         0
        .size:           8
        .value_kind:     global_buffer
      - .actual_access:  read_only
        .address_space:  global
        .offset:         8
        .size:           8
        .value_kind:     global_buffer
      - .offset:         16
        .size:           4
        .value_kind:     by_value
      - .actual_access:  read_only
        .address_space:  global
        .offset:         24
        .size:           8
        .value_kind:     global_buffer
      - .actual_access:  read_only
        .address_space:  global
        .offset:         32
        .size:           8
        .value_kind:     global_buffer
      - .offset:         40
        .size:           4
        .value_kind:     by_value
      - .offset:         44
        .size:           4
        .value_kind:     by_value
      - .offset:         48
        .size:           4
        .value_kind:     by_value
      - .offset:         56
        .size:           4
        .value_kind:     hidden_block_count_x
      - .offset:         60
        .size:           4
        .value_kind:     hidden_block_count_y
      - .offset:         64
        .size:           4
        .value_kind:     hidden_block_count_z
      - .offset:         68
        .size:           2
        .value_kind:     hidden_group_size_x
      - .offset:         70
        .size:           2
        .value_kind:     hidden_group_size_y
      - .offset:         72
        .size:           2
        .value_kind:     hidden_group_size_z
      - .offset:         74
        .size:           2
        .value_kind:     hidden_remainder_x
      - .offset:         76
        .size:           2
        .value_kind:     hidden_remainder_y
      - .offset:         78
        .size:           2
        .value_kind:     hidden_remainder_z
      - .offset:         96
        .size:           8
        .value_kind:     hidden_global_offset_x
      - .offset:         104
        .size:           8
        .value_kind:     hidden_global_offset_y
      - .offset:         112
        .size:           8
        .value_kind:     hidden_global_offset_z
      - .offset:         120
        .size:           2
        .value_kind:     hidden_grid_dims
    .group_segment_fixed_size: 68
    .kernarg_segment_align: 8
    .kernarg_segment_size: 312
    .language:       OpenCL C
    .language_version:
      - 2
      - 0
    .max_flat_workgroup_size: 1024
    .name:           _ZN4vllm32rms_norm_static_fp8_quant_kernelIfN3c1015Float8_e4m3fnuzEEEvPT0_PKT_iS7_PKffii
    .private_segment_fixed_size: 0
    .sgpr_count:     12
    .sgpr_spill_count: 0
    .symbol:         _ZN4vllm32rms_norm_static_fp8_quant_kernelIfN3c1015Float8_e4m3fnuzEEEvPT0_PKT_iS7_PKffii.kd
    .uniform_work_group_size: 1
    .uses_dynamic_stack: false
    .vgpr_count:     10
    .vgpr_spill_count: 0
    .wavefront_size: 32
    .workgroup_processor_mode: 1
  - .args:
      - .actual_access:  write_only
        .address_space:  global
        .offset:         0
        .size:           8
        .value_kind:     global_buffer
      - .actual_access:  read_only
        .address_space:  global
        .offset:         8
        .size:           8
        .value_kind:     global_buffer
      - .offset:         16
        .size:           4
        .value_kind:     by_value
      - .actual_access:  read_only
        .address_space:  global
        .offset:         24
        .size:           8
        .value_kind:     global_buffer
      - .actual_access:  read_only
        .address_space:  global
        .offset:         32
        .size:           8
        .value_kind:     global_buffer
      - .offset:         40
        .size:           4
        .value_kind:     by_value
      - .offset:         44
        .size:           4
        .value_kind:     by_value
      - .offset:         48
        .size:           4
        .value_kind:     by_value
      - .offset:         56
        .size:           4
        .value_kind:     hidden_block_count_x
      - .offset:         60
        .size:           4
        .value_kind:     hidden_block_count_y
      - .offset:         64
        .size:           4
        .value_kind:     hidden_block_count_z
      - .offset:         68
        .size:           2
        .value_kind:     hidden_group_size_x
      - .offset:         70
        .size:           2
        .value_kind:     hidden_group_size_y
      - .offset:         72
        .size:           2
        .value_kind:     hidden_group_size_z
      - .offset:         74
        .size:           2
        .value_kind:     hidden_remainder_x
      - .offset:         76
        .size:           2
        .value_kind:     hidden_remainder_y
      - .offset:         78
        .size:           2
        .value_kind:     hidden_remainder_z
      - .offset:         96
        .size:           8
        .value_kind:     hidden_global_offset_x
      - .offset:         104
        .size:           8
        .value_kind:     hidden_global_offset_y
      - .offset:         112
        .size:           8
        .value_kind:     hidden_global_offset_z
      - .offset:         120
        .size:           2
        .value_kind:     hidden_grid_dims
    .group_segment_fixed_size: 68
    .kernarg_segment_align: 8
    .kernarg_segment_size: 312
    .language:       OpenCL C
    .language_version:
      - 2
      - 0
    .max_flat_workgroup_size: 1024
    .name:           _ZN4vllm32rms_norm_static_fp8_quant_kernelIN3c104HalfENS1_13Float8_e4m3fnEEEvPT0_PKT_iS8_PKffii
    .private_segment_fixed_size: 0
    .sgpr_count:     19
    .sgpr_spill_count: 0
    .symbol:         _ZN4vllm32rms_norm_static_fp8_quant_kernelIN3c104HalfENS1_13Float8_e4m3fnEEEvPT0_PKT_iS8_PKffii.kd
    .uniform_work_group_size: 1
    .uses_dynamic_stack: false
    .vgpr_count:     12
    .vgpr_spill_count: 0
    .wavefront_size: 32
    .workgroup_processor_mode: 1
  - .args:
      - .actual_access:  read_only
        .address_space:  global
        .offset:         0
        .size:           8
        .value_kind:     global_buffer
      - .actual_access:  read_only
        .address_space:  global
        .offset:         8
        .size:           8
        .value_kind:     global_buffer
      - .offset:         16
        .size:           4
        .value_kind:     by_value
      - .actual_access:  read_only
        .address_space:  global
        .offset:         24
        .size:           8
        .value_kind:     global_buffer
      - .actual_access:  read_only
        .address_space:  global
        .offset:         32
        .size:           8
        .value_kind:     global_buffer
      - .offset:         40
        .size:           4
        .value_kind:     by_value
      - .offset:         44
        .size:           4
        .value_kind:     by_value
      - .offset:         48
        .size:           4
        .value_kind:     by_value
      - .offset:         56
        .size:           4
        .value_kind:     hidden_block_count_x
      - .offset:         60
        .size:           4
        .value_kind:     hidden_block_count_y
      - .offset:         64
        .size:           4
        .value_kind:     hidden_block_count_z
      - .offset:         68
        .size:           2
        .value_kind:     hidden_group_size_x
      - .offset:         70
        .size:           2
        .value_kind:     hidden_group_size_y
      - .offset:         72
        .size:           2
        .value_kind:     hidden_group_size_z
      - .offset:         74
        .size:           2
        .value_kind:     hidden_remainder_x
      - .offset:         76
        .size:           2
        .value_kind:     hidden_remainder_y
      - .offset:         78
        .size:           2
        .value_kind:     hidden_remainder_z
      - .offset:         96
        .size:           8
        .value_kind:     hidden_global_offset_x
      - .offset:         104
        .size:           8
        .value_kind:     hidden_global_offset_y
      - .offset:         112
        .size:           8
        .value_kind:     hidden_global_offset_z
      - .offset:         120
        .size:           2
        .value_kind:     hidden_grid_dims
    .group_segment_fixed_size: 68
    .kernarg_segment_align: 8
    .kernarg_segment_size: 312
    .language:       OpenCL C
    .language_version:
      - 2
      - 0
    .max_flat_workgroup_size: 1024
    .name:           _ZN4vllm32rms_norm_static_fp8_quant_kernelIN3c104HalfENS1_15Float8_e4m3fnuzEEEvPT0_PKT_iS8_PKffii
    .private_segment_fixed_size: 0
    .sgpr_count:     12
    .sgpr_spill_count: 0
    .symbol:         _ZN4vllm32rms_norm_static_fp8_quant_kernelIN3c104HalfENS1_15Float8_e4m3fnuzEEEvPT0_PKT_iS8_PKffii.kd
    .uniform_work_group_size: 1
    .uses_dynamic_stack: false
    .vgpr_count:     10
    .vgpr_spill_count: 0
    .wavefront_size: 32
    .workgroup_processor_mode: 1
  - .args:
      - .actual_access:  write_only
        .address_space:  global
        .offset:         0
        .size:           8
        .value_kind:     global_buffer
      - .actual_access:  read_only
        .address_space:  global
        .offset:         8
        .size:           8
        .value_kind:     global_buffer
      - .offset:         16
        .size:           4
        .value_kind:     by_value
      - .actual_access:  read_only
        .address_space:  global
        .offset:         24
        .size:           8
        .value_kind:     global_buffer
      - .actual_access:  read_only
        .address_space:  global
        .offset:         32
        .size:           8
        .value_kind:     global_buffer
      - .offset:         40
        .size:           4
        .value_kind:     by_value
      - .offset:         44
        .size:           4
        .value_kind:     by_value
      - .offset:         48
        .size:           4
        .value_kind:     by_value
      - .offset:         56
        .size:           4
        .value_kind:     hidden_block_count_x
      - .offset:         60
        .size:           4
        .value_kind:     hidden_block_count_y
      - .offset:         64
        .size:           4
        .value_kind:     hidden_block_count_z
      - .offset:         68
        .size:           2
        .value_kind:     hidden_group_size_x
      - .offset:         70
        .size:           2
        .value_kind:     hidden_group_size_y
      - .offset:         72
        .size:           2
        .value_kind:     hidden_group_size_z
      - .offset:         74
        .size:           2
        .value_kind:     hidden_remainder_x
      - .offset:         76
        .size:           2
        .value_kind:     hidden_remainder_y
      - .offset:         78
        .size:           2
        .value_kind:     hidden_remainder_z
      - .offset:         96
        .size:           8
        .value_kind:     hidden_global_offset_x
      - .offset:         104
        .size:           8
        .value_kind:     hidden_global_offset_y
      - .offset:         112
        .size:           8
        .value_kind:     hidden_global_offset_z
      - .offset:         120
        .size:           2
        .value_kind:     hidden_grid_dims
    .group_segment_fixed_size: 68
    .kernarg_segment_align: 8
    .kernarg_segment_size: 312
    .language:       OpenCL C
    .language_version:
      - 2
      - 0
    .max_flat_workgroup_size: 1024
    .name:           _ZN4vllm32rms_norm_static_fp8_quant_kernelIN3c108BFloat16ENS1_13Float8_e4m3fnEEEvPT0_PKT_iS8_PKffii
    .private_segment_fixed_size: 0
    .sgpr_count:     19
    .sgpr_spill_count: 0
    .symbol:         _ZN4vllm32rms_norm_static_fp8_quant_kernelIN3c108BFloat16ENS1_13Float8_e4m3fnEEEvPT0_PKT_iS8_PKffii.kd
    .uniform_work_group_size: 1
    .uses_dynamic_stack: false
    .vgpr_count:     12
    .vgpr_spill_count: 0
    .wavefront_size: 32
    .workgroup_processor_mode: 1
  - .args:
      - .actual_access:  read_only
        .address_space:  global
        .offset:         0
        .size:           8
        .value_kind:     global_buffer
      - .actual_access:  read_only
        .address_space:  global
        .offset:         8
        .size:           8
        .value_kind:     global_buffer
      - .offset:         16
        .size:           4
        .value_kind:     by_value
      - .actual_access:  read_only
        .address_space:  global
        .offset:         24
        .size:           8
        .value_kind:     global_buffer
      - .actual_access:  read_only
        .address_space:  global
        .offset:         32
        .size:           8
        .value_kind:     global_buffer
      - .offset:         40
        .size:           4
        .value_kind:     by_value
      - .offset:         44
        .size:           4
        .value_kind:     by_value
      - .offset:         48
        .size:           4
        .value_kind:     by_value
      - .offset:         56
        .size:           4
        .value_kind:     hidden_block_count_x
      - .offset:         60
        .size:           4
        .value_kind:     hidden_block_count_y
      - .offset:         64
        .size:           4
        .value_kind:     hidden_block_count_z
      - .offset:         68
        .size:           2
        .value_kind:     hidden_group_size_x
      - .offset:         70
        .size:           2
        .value_kind:     hidden_group_size_y
      - .offset:         72
        .size:           2
        .value_kind:     hidden_group_size_z
      - .offset:         74
        .size:           2
        .value_kind:     hidden_remainder_x
      - .offset:         76
        .size:           2
        .value_kind:     hidden_remainder_y
      - .offset:         78
        .size:           2
        .value_kind:     hidden_remainder_z
      - .offset:         96
        .size:           8
        .value_kind:     hidden_global_offset_x
      - .offset:         104
        .size:           8
        .value_kind:     hidden_global_offset_y
      - .offset:         112
        .size:           8
        .value_kind:     hidden_global_offset_z
      - .offset:         120
        .size:           2
        .value_kind:     hidden_grid_dims
    .group_segment_fixed_size: 68
    .kernarg_segment_align: 8
    .kernarg_segment_size: 312
    .language:       OpenCL C
    .language_version:
      - 2
      - 0
    .max_flat_workgroup_size: 1024
    .name:           _ZN4vllm32rms_norm_static_fp8_quant_kernelIN3c108BFloat16ENS1_15Float8_e4m3fnuzEEEvPT0_PKT_iS8_PKffii
    .private_segment_fixed_size: 0
    .sgpr_count:     12
    .sgpr_spill_count: 0
    .symbol:         _ZN4vllm32rms_norm_static_fp8_quant_kernelIN3c108BFloat16ENS1_15Float8_e4m3fnuzEEEvPT0_PKT_iS8_PKffii.kd
    .uniform_work_group_size: 1
    .uses_dynamic_stack: false
    .vgpr_count:     10
    .vgpr_spill_count: 0
    .wavefront_size: 32
    .workgroup_processor_mode: 1
  - .args:
      - .actual_access:  write_only
        .address_space:  global
        .offset:         0
        .size:           8
        .value_kind:     global_buffer
      - .actual_access:  read_only
        .address_space:  global
        .offset:         8
        .size:           8
        .value_kind:     global_buffer
      - .offset:         16
        .size:           4
        .value_kind:     by_value
      - .address_space:  global
        .offset:         24
        .size:           8
        .value_kind:     global_buffer
      - .actual_access:  read_only
        .address_space:  global
        .offset:         32
        .size:           8
        .value_kind:     global_buffer
      - .actual_access:  read_only
        .address_space:  global
        .offset:         40
        .size:           8
        .value_kind:     global_buffer
      - .offset:         48
        .size:           4
        .value_kind:     by_value
      - .offset:         52
        .size:           4
        .value_kind:     by_value
      - .offset:         56
        .size:           4
        .value_kind:     by_value
      - .offset:         64
        .size:           4
        .value_kind:     hidden_block_count_x
      - .offset:         68
        .size:           4
        .value_kind:     hidden_block_count_y
      - .offset:         72
        .size:           4
        .value_kind:     hidden_block_count_z
      - .offset:         76
        .size:           2
        .value_kind:     hidden_group_size_x
      - .offset:         78
        .size:           2
        .value_kind:     hidden_group_size_y
      - .offset:         80
        .size:           2
        .value_kind:     hidden_group_size_z
      - .offset:         82
        .size:           2
        .value_kind:     hidden_remainder_x
      - .offset:         84
        .size:           2
        .value_kind:     hidden_remainder_y
      - .offset:         86
        .size:           2
        .value_kind:     hidden_remainder_z
      - .offset:         104
        .size:           8
        .value_kind:     hidden_global_offset_x
      - .offset:         112
        .size:           8
        .value_kind:     hidden_global_offset_y
      - .offset:         120
        .size:           8
        .value_kind:     hidden_global_offset_z
      - .offset:         128
        .size:           2
        .value_kind:     hidden_grid_dims
    .group_segment_fixed_size: 68
    .kernarg_segment_align: 8
    .kernarg_segment_size: 320
    .language:       OpenCL C
    .language_version:
      - 2
      - 0
    .max_flat_workgroup_size: 1024
    .name:           _ZN4vllm42fused_add_rms_norm_static_fp8_quant_kernelIfLi8EN3c1013Float8_e4m3fnEEENSt9enable_ifIXooeqT0_Li0Entsr12_typeConvertIT_EE6existsEvE4typeEPT1_PS4_iS9_PKS4_PKffii
    .private_segment_fixed_size: 0
    .sgpr_count:     21
    .sgpr_spill_count: 0
    .symbol:         _ZN4vllm42fused_add_rms_norm_static_fp8_quant_kernelIfLi8EN3c1013Float8_e4m3fnEEENSt9enable_ifIXooeqT0_Li0Entsr12_typeConvertIT_EE6existsEvE4typeEPT1_PS4_iS9_PKS4_PKffii.kd
    .uniform_work_group_size: 1
    .uses_dynamic_stack: false
    .vgpr_count:     12
    .vgpr_spill_count: 0
    .wavefront_size: 32
    .workgroup_processor_mode: 1
  - .args:
      - .actual_access:  read_only
        .address_space:  global
        .offset:         0
        .size:           8
        .value_kind:     global_buffer
      - .actual_access:  read_only
        .address_space:  global
        .offset:         8
        .size:           8
        .value_kind:     global_buffer
      - .offset:         16
        .size:           4
        .value_kind:     by_value
      - .address_space:  global
        .offset:         24
        .size:           8
        .value_kind:     global_buffer
      - .actual_access:  read_only
        .address_space:  global
        .offset:         32
        .size:           8
        .value_kind:     global_buffer
      - .actual_access:  read_only
        .address_space:  global
        .offset:         40
        .size:           8
        .value_kind:     global_buffer
      - .offset:         48
        .size:           4
        .value_kind:     by_value
      - .offset:         52
        .size:           4
        .value_kind:     by_value
      - .offset:         56
        .size:           4
        .value_kind:     by_value
      - .offset:         64
        .size:           4
        .value_kind:     hidden_block_count_x
      - .offset:         68
        .size:           4
        .value_kind:     hidden_block_count_y
      - .offset:         72
        .size:           4
        .value_kind:     hidden_block_count_z
      - .offset:         76
        .size:           2
        .value_kind:     hidden_group_size_x
      - .offset:         78
        .size:           2
        .value_kind:     hidden_group_size_y
      - .offset:         80
        .size:           2
        .value_kind:     hidden_group_size_z
      - .offset:         82
        .size:           2
        .value_kind:     hidden_remainder_x
      - .offset:         84
        .size:           2
        .value_kind:     hidden_remainder_y
      - .offset:         86
        .size:           2
        .value_kind:     hidden_remainder_z
      - .offset:         104
        .size:           8
        .value_kind:     hidden_global_offset_x
      - .offset:         112
        .size:           8
        .value_kind:     hidden_global_offset_y
      - .offset:         120
        .size:           8
        .value_kind:     hidden_global_offset_z
      - .offset:         128
        .size:           2
        .value_kind:     hidden_grid_dims
    .group_segment_fixed_size: 68
    .kernarg_segment_align: 8
    .kernarg_segment_size: 320
    .language:       OpenCL C
    .language_version:
      - 2
      - 0
    .max_flat_workgroup_size: 1024
    .name:           _ZN4vllm42fused_add_rms_norm_static_fp8_quant_kernelIfLi8EN3c1015Float8_e4m3fnuzEEENSt9enable_ifIXooeqT0_Li0Entsr12_typeConvertIT_EE6existsEvE4typeEPT1_PS4_iS9_PKS4_PKffii
    .private_segment_fixed_size: 0
    .sgpr_count:     15
    .sgpr_spill_count: 0
    .symbol:         _ZN4vllm42fused_add_rms_norm_static_fp8_quant_kernelIfLi8EN3c1015Float8_e4m3fnuzEEENSt9enable_ifIXooeqT0_Li0Entsr12_typeConvertIT_EE6existsEvE4typeEPT1_PS4_iS9_PKS4_PKffii.kd
    .uniform_work_group_size: 1
    .uses_dynamic_stack: false
    .vgpr_count:     10
    .vgpr_spill_count: 0
    .wavefront_size: 32
    .workgroup_processor_mode: 1
  - .args:
      - .actual_access:  write_only
        .address_space:  global
        .offset:         0
        .size:           8
        .value_kind:     global_buffer
      - .actual_access:  read_only
        .address_space:  global
        .offset:         8
        .size:           8
        .value_kind:     global_buffer
      - .offset:         16
        .size:           4
        .value_kind:     by_value
      - .address_space:  global
        .offset:         24
        .size:           8
        .value_kind:     global_buffer
      - .actual_access:  read_only
        .address_space:  global
        .offset:         32
        .size:           8
        .value_kind:     global_buffer
      - .actual_access:  read_only
        .address_space:  global
        .offset:         40
        .size:           8
        .value_kind:     global_buffer
      - .offset:         48
        .size:           4
        .value_kind:     by_value
      - .offset:         52
        .size:           4
        .value_kind:     by_value
      - .offset:         56
        .size:           4
        .value_kind:     by_value
      - .offset:         64
        .size:           4
        .value_kind:     hidden_block_count_x
      - .offset:         68
        .size:           4
        .value_kind:     hidden_block_count_y
      - .offset:         72
        .size:           4
        .value_kind:     hidden_block_count_z
      - .offset:         76
        .size:           2
        .value_kind:     hidden_group_size_x
      - .offset:         78
        .size:           2
        .value_kind:     hidden_group_size_y
      - .offset:         80
        .size:           2
        .value_kind:     hidden_group_size_z
      - .offset:         82
        .size:           2
        .value_kind:     hidden_remainder_x
      - .offset:         84
        .size:           2
        .value_kind:     hidden_remainder_y
      - .offset:         86
        .size:           2
        .value_kind:     hidden_remainder_z
      - .offset:         104
        .size:           8
        .value_kind:     hidden_global_offset_x
      - .offset:         112
        .size:           8
        .value_kind:     hidden_global_offset_y
      - .offset:         120
        .size:           8
        .value_kind:     hidden_global_offset_z
      - .offset:         128
        .size:           2
        .value_kind:     hidden_grid_dims
    .group_segment_fixed_size: 68
    .kernarg_segment_align: 8
    .kernarg_segment_size: 320
    .language:       OpenCL C
    .language_version:
      - 2
      - 0
    .max_flat_workgroup_size: 1024
    .name:           _ZN4vllm42fused_add_rms_norm_static_fp8_quant_kernelIN3c104HalfELi8ENS1_13Float8_e4m3fnEEENSt9enable_ifIXaagtT0_Li0Esr12_typeConvertIT_EE6existsEvE4typeEPT1_PS5_iSA_PKS5_PKffii
    .private_segment_fixed_size: 0
    .sgpr_count:     22
    .sgpr_spill_count: 0
    .symbol:         _ZN4vllm42fused_add_rms_norm_static_fp8_quant_kernelIN3c104HalfELi8ENS1_13Float8_e4m3fnEEENSt9enable_ifIXaagtT0_Li0Esr12_typeConvertIT_EE6existsEvE4typeEPT1_PS5_iSA_PKS5_PKffii.kd
    .uniform_work_group_size: 1
    .uses_dynamic_stack: false
    .vgpr_count:     32
    .vgpr_spill_count: 0
    .wavefront_size: 32
    .workgroup_processor_mode: 1
  - .args:
      - .actual_access:  read_only
        .address_space:  global
        .offset:         0
        .size:           8
        .value_kind:     global_buffer
      - .actual_access:  read_only
        .address_space:  global
        .offset:         8
        .size:           8
        .value_kind:     global_buffer
      - .offset:         16
        .size:           4
        .value_kind:     by_value
      - .address_space:  global
        .offset:         24
        .size:           8
        .value_kind:     global_buffer
      - .actual_access:  read_only
        .address_space:  global
        .offset:         32
        .size:           8
        .value_kind:     global_buffer
      - .actual_access:  read_only
        .address_space:  global
        .offset:         40
        .size:           8
        .value_kind:     global_buffer
      - .offset:         48
        .size:           4
        .value_kind:     by_value
      - .offset:         52
        .size:           4
        .value_kind:     by_value
      - .offset:         56
        .size:           4
        .value_kind:     by_value
      - .offset:         64
        .size:           4
        .value_kind:     hidden_block_count_x
      - .offset:         68
        .size:           4
        .value_kind:     hidden_block_count_y
      - .offset:         72
        .size:           4
        .value_kind:     hidden_block_count_z
      - .offset:         76
        .size:           2
        .value_kind:     hidden_group_size_x
      - .offset:         78
        .size:           2
        .value_kind:     hidden_group_size_y
      - .offset:         80
        .size:           2
        .value_kind:     hidden_group_size_z
      - .offset:         82
        .size:           2
        .value_kind:     hidden_remainder_x
      - .offset:         84
        .size:           2
        .value_kind:     hidden_remainder_y
      - .offset:         86
        .size:           2
        .value_kind:     hidden_remainder_z
      - .offset:         104
        .size:           8
        .value_kind:     hidden_global_offset_x
      - .offset:         112
        .size:           8
        .value_kind:     hidden_global_offset_y
      - .offset:         120
        .size:           8
        .value_kind:     hidden_global_offset_z
      - .offset:         128
        .size:           2
        .value_kind:     hidden_grid_dims
    .group_segment_fixed_size: 68
    .kernarg_segment_align: 8
    .kernarg_segment_size: 320
    .language:       OpenCL C
    .language_version:
      - 2
      - 0
    .max_flat_workgroup_size: 1024
    .name:           _ZN4vllm42fused_add_rms_norm_static_fp8_quant_kernelIN3c104HalfELi8ENS1_15Float8_e4m3fnuzEEENSt9enable_ifIXaagtT0_Li0Esr12_typeConvertIT_EE6existsEvE4typeEPT1_PS5_iSA_PKS5_PKffii
    .private_segment_fixed_size: 0
    .sgpr_count:     16
    .sgpr_spill_count: 0
    .symbol:         _ZN4vllm42fused_add_rms_norm_static_fp8_quant_kernelIN3c104HalfELi8ENS1_15Float8_e4m3fnuzEEENSt9enable_ifIXaagtT0_Li0Esr12_typeConvertIT_EE6existsEvE4typeEPT1_PS5_iSA_PKS5_PKffii.kd
    .uniform_work_group_size: 1
    .uses_dynamic_stack: false
    .vgpr_count:     13
    .vgpr_spill_count: 0
    .wavefront_size: 32
    .workgroup_processor_mode: 1
  - .args:
      - .actual_access:  write_only
        .address_space:  global
        .offset:         0
        .size:           8
        .value_kind:     global_buffer
      - .actual_access:  read_only
        .address_space:  global
        .offset:         8
        .size:           8
        .value_kind:     global_buffer
      - .offset:         16
        .size:           4
        .value_kind:     by_value
      - .address_space:  global
        .offset:         24
        .size:           8
        .value_kind:     global_buffer
      - .actual_access:  read_only
        .address_space:  global
        .offset:         32
        .size:           8
        .value_kind:     global_buffer
      - .actual_access:  read_only
        .address_space:  global
        .offset:         40
        .size:           8
        .value_kind:     global_buffer
      - .offset:         48
        .size:           4
        .value_kind:     by_value
      - .offset:         52
        .size:           4
        .value_kind:     by_value
      - .offset:         56
        .size:           4
        .value_kind:     by_value
      - .offset:         64
        .size:           4
        .value_kind:     hidden_block_count_x
      - .offset:         68
        .size:           4
        .value_kind:     hidden_block_count_y
      - .offset:         72
        .size:           4
        .value_kind:     hidden_block_count_z
      - .offset:         76
        .size:           2
        .value_kind:     hidden_group_size_x
      - .offset:         78
        .size:           2
        .value_kind:     hidden_group_size_y
      - .offset:         80
        .size:           2
        .value_kind:     hidden_group_size_z
      - .offset:         82
        .size:           2
        .value_kind:     hidden_remainder_x
      - .offset:         84
        .size:           2
        .value_kind:     hidden_remainder_y
      - .offset:         86
        .size:           2
        .value_kind:     hidden_remainder_z
      - .offset:         104
        .size:           8
        .value_kind:     hidden_global_offset_x
      - .offset:         112
        .size:           8
        .value_kind:     hidden_global_offset_y
      - .offset:         120
        .size:           8
        .value_kind:     hidden_global_offset_z
      - .offset:         128
        .size:           2
        .value_kind:     hidden_grid_dims
    .group_segment_fixed_size: 68
    .kernarg_segment_align: 8
    .kernarg_segment_size: 320
    .language:       OpenCL C
    .language_version:
      - 2
      - 0
    .max_flat_workgroup_size: 1024
    .name:           _ZN4vllm42fused_add_rms_norm_static_fp8_quant_kernelIN3c108BFloat16ELi8ENS1_13Float8_e4m3fnEEENSt9enable_ifIXooeqT0_Li0Entsr12_typeConvertIT_EE6existsEvE4typeEPT1_PS5_iSA_PKS5_PKffii
    .private_segment_fixed_size: 0
    .sgpr_count:     21
    .sgpr_spill_count: 0
    .symbol:         _ZN4vllm42fused_add_rms_norm_static_fp8_quant_kernelIN3c108BFloat16ELi8ENS1_13Float8_e4m3fnEEENSt9enable_ifIXooeqT0_Li0Entsr12_typeConvertIT_EE6existsEvE4typeEPT1_PS5_iSA_PKS5_PKffii.kd
    .uniform_work_group_size: 1
    .uses_dynamic_stack: false
    .vgpr_count:     12
    .vgpr_spill_count: 0
    .wavefront_size: 32
    .workgroup_processor_mode: 1
  - .args:
      - .actual_access:  read_only
        .address_space:  global
        .offset:         0
        .size:           8
        .value_kind:     global_buffer
      - .actual_access:  read_only
        .address_space:  global
        .offset:         8
        .size:           8
        .value_kind:     global_buffer
      - .offset:         16
        .size:           4
        .value_kind:     by_value
      - .address_space:  global
        .offset:         24
        .size:           8
        .value_kind:     global_buffer
      - .actual_access:  read_only
        .address_space:  global
        .offset:         32
        .size:           8
        .value_kind:     global_buffer
      - .actual_access:  read_only
        .address_space:  global
        .offset:         40
        .size:           8
        .value_kind:     global_buffer
      - .offset:         48
        .size:           4
        .value_kind:     by_value
      - .offset:         52
        .size:           4
        .value_kind:     by_value
      - .offset:         56
        .size:           4
        .value_kind:     by_value
      - .offset:         64
        .size:           4
        .value_kind:     hidden_block_count_x
      - .offset:         68
        .size:           4
        .value_kind:     hidden_block_count_y
      - .offset:         72
        .size:           4
        .value_kind:     hidden_block_count_z
      - .offset:         76
        .size:           2
        .value_kind:     hidden_group_size_x
      - .offset:         78
        .size:           2
        .value_kind:     hidden_group_size_y
      - .offset:         80
        .size:           2
        .value_kind:     hidden_group_size_z
      - .offset:         82
        .size:           2
        .value_kind:     hidden_remainder_x
      - .offset:         84
        .size:           2
        .value_kind:     hidden_remainder_y
      - .offset:         86
        .size:           2
        .value_kind:     hidden_remainder_z
      - .offset:         104
        .size:           8
        .value_kind:     hidden_global_offset_x
      - .offset:         112
        .size:           8
        .value_kind:     hidden_global_offset_y
      - .offset:         120
        .size:           8
        .value_kind:     hidden_global_offset_z
      - .offset:         128
        .size:           2
        .value_kind:     hidden_grid_dims
    .group_segment_fixed_size: 68
    .kernarg_segment_align: 8
    .kernarg_segment_size: 320
    .language:       OpenCL C
    .language_version:
      - 2
      - 0
    .max_flat_workgroup_size: 1024
    .name:           _ZN4vllm42fused_add_rms_norm_static_fp8_quant_kernelIN3c108BFloat16ELi8ENS1_15Float8_e4m3fnuzEEENSt9enable_ifIXooeqT0_Li0Entsr12_typeConvertIT_EE6existsEvE4typeEPT1_PS5_iSA_PKS5_PKffii
    .private_segment_fixed_size: 0
    .sgpr_count:     15
    .sgpr_spill_count: 0
    .symbol:         _ZN4vllm42fused_add_rms_norm_static_fp8_quant_kernelIN3c108BFloat16ELi8ENS1_15Float8_e4m3fnuzEEENSt9enable_ifIXooeqT0_Li0Entsr12_typeConvertIT_EE6existsEvE4typeEPT1_PS5_iSA_PKS5_PKffii.kd
    .uniform_work_group_size: 1
    .uses_dynamic_stack: false
    .vgpr_count:     10
    .vgpr_spill_count: 0
    .wavefront_size: 32
    .workgroup_processor_mode: 1
  - .args:
      - .actual_access:  write_only
        .address_space:  global
        .offset:         0
        .size:           8
        .value_kind:     global_buffer
      - .actual_access:  read_only
        .address_space:  global
        .offset:         8
        .size:           8
        .value_kind:     global_buffer
      - .offset:         16
        .size:           4
        .value_kind:     by_value
      - .address_space:  global
        .offset:         24
        .size:           8
        .value_kind:     global_buffer
      - .actual_access:  read_only
        .address_space:  global
        .offset:         32
        .size:           8
        .value_kind:     global_buffer
      - .actual_access:  read_only
        .address_space:  global
        .offset:         40
        .size:           8
        .value_kind:     global_buffer
      - .offset:         48
        .size:           4
        .value_kind:     by_value
      - .offset:         52
        .size:           4
        .value_kind:     by_value
      - .offset:         56
        .size:           4
        .value_kind:     by_value
      - .offset:         64
        .size:           4
        .value_kind:     hidden_block_count_x
      - .offset:         68
        .size:           4
        .value_kind:     hidden_block_count_y
      - .offset:         72
        .size:           4
        .value_kind:     hidden_block_count_z
      - .offset:         76
        .size:           2
        .value_kind:     hidden_group_size_x
      - .offset:         78
        .size:           2
        .value_kind:     hidden_group_size_y
      - .offset:         80
        .size:           2
        .value_kind:     hidden_group_size_z
      - .offset:         82
        .size:           2
        .value_kind:     hidden_remainder_x
      - .offset:         84
        .size:           2
        .value_kind:     hidden_remainder_y
      - .offset:         86
        .size:           2
        .value_kind:     hidden_remainder_z
      - .offset:         104
        .size:           8
        .value_kind:     hidden_global_offset_x
      - .offset:         112
        .size:           8
        .value_kind:     hidden_global_offset_y
      - .offset:         120
        .size:           8
        .value_kind:     hidden_global_offset_z
      - .offset:         128
        .size:           2
        .value_kind:     hidden_grid_dims
    .group_segment_fixed_size: 68
    .kernarg_segment_align: 8
    .kernarg_segment_size: 320
    .language:       OpenCL C
    .language_version:
      - 2
      - 0
    .max_flat_workgroup_size: 1024
    .name:           _ZN4vllm42fused_add_rms_norm_static_fp8_quant_kernelIfLi0EN3c1013Float8_e4m3fnEEENSt9enable_ifIXooeqT0_Li0Entsr12_typeConvertIT_EE6existsEvE4typeEPT1_PS4_iS9_PKS4_PKffii
    .private_segment_fixed_size: 0
    .sgpr_count:     21
    .sgpr_spill_count: 0
    .symbol:         _ZN4vllm42fused_add_rms_norm_static_fp8_quant_kernelIfLi0EN3c1013Float8_e4m3fnEEENSt9enable_ifIXooeqT0_Li0Entsr12_typeConvertIT_EE6existsEvE4typeEPT1_PS4_iS9_PKS4_PKffii.kd
    .uniform_work_group_size: 1
    .uses_dynamic_stack: false
    .vgpr_count:     12
    .vgpr_spill_count: 0
    .wavefront_size: 32
    .workgroup_processor_mode: 1
  - .args:
      - .actual_access:  read_only
        .address_space:  global
        .offset:         0
        .size:           8
        .value_kind:     global_buffer
      - .actual_access:  read_only
        .address_space:  global
        .offset:         8
        .size:           8
        .value_kind:     global_buffer
      - .offset:         16
        .size:           4
        .value_kind:     by_value
      - .address_space:  global
        .offset:         24
        .size:           8
        .value_kind:     global_buffer
      - .actual_access:  read_only
        .address_space:  global
        .offset:         32
        .size:           8
        .value_kind:     global_buffer
      - .actual_access:  read_only
        .address_space:  global
        .offset:         40
        .size:           8
        .value_kind:     global_buffer
      - .offset:         48
        .size:           4
        .value_kind:     by_value
      - .offset:         52
        .size:           4
        .value_kind:     by_value
      - .offset:         56
        .size:           4
        .value_kind:     by_value
      - .offset:         64
        .size:           4
        .value_kind:     hidden_block_count_x
      - .offset:         68
        .size:           4
        .value_kind:     hidden_block_count_y
      - .offset:         72
        .size:           4
        .value_kind:     hidden_block_count_z
      - .offset:         76
        .size:           2
        .value_kind:     hidden_group_size_x
      - .offset:         78
        .size:           2
        .value_kind:     hidden_group_size_y
      - .offset:         80
        .size:           2
        .value_kind:     hidden_group_size_z
      - .offset:         82
        .size:           2
        .value_kind:     hidden_remainder_x
      - .offset:         84
        .size:           2
        .value_kind:     hidden_remainder_y
      - .offset:         86
        .size:           2
        .value_kind:     hidden_remainder_z
      - .offset:         104
        .size:           8
        .value_kind:     hidden_global_offset_x
      - .offset:         112
        .size:           8
        .value_kind:     hidden_global_offset_y
      - .offset:         120
        .size:           8
        .value_kind:     hidden_global_offset_z
      - .offset:         128
        .size:           2
        .value_kind:     hidden_grid_dims
    .group_segment_fixed_size: 68
    .kernarg_segment_align: 8
    .kernarg_segment_size: 320
    .language:       OpenCL C
    .language_version:
      - 2
      - 0
    .max_flat_workgroup_size: 1024
    .name:           _ZN4vllm42fused_add_rms_norm_static_fp8_quant_kernelIfLi0EN3c1015Float8_e4m3fnuzEEENSt9enable_ifIXooeqT0_Li0Entsr12_typeConvertIT_EE6existsEvE4typeEPT1_PS4_iS9_PKS4_PKffii
    .private_segment_fixed_size: 0
    .sgpr_count:     15
    .sgpr_spill_count: 0
    .symbol:         _ZN4vllm42fused_add_rms_norm_static_fp8_quant_kernelIfLi0EN3c1015Float8_e4m3fnuzEEENSt9enable_ifIXooeqT0_Li0Entsr12_typeConvertIT_EE6existsEvE4typeEPT1_PS4_iS9_PKS4_PKffii.kd
    .uniform_work_group_size: 1
    .uses_dynamic_stack: false
    .vgpr_count:     10
    .vgpr_spill_count: 0
    .wavefront_size: 32
    .workgroup_processor_mode: 1
  - .args:
      - .actual_access:  write_only
        .address_space:  global
        .offset:         0
        .size:           8
        .value_kind:     global_buffer
      - .actual_access:  read_only
        .address_space:  global
        .offset:         8
        .size:           8
        .value_kind:     global_buffer
      - .offset:         16
        .size:           4
        .value_kind:     by_value
      - .address_space:  global
        .offset:         24
        .size:           8
        .value_kind:     global_buffer
      - .actual_access:  read_only
        .address_space:  global
        .offset:         32
        .size:           8
        .value_kind:     global_buffer
      - .actual_access:  read_only
        .address_space:  global
        .offset:         40
        .size:           8
        .value_kind:     global_buffer
      - .offset:         48
        .size:           4
        .value_kind:     by_value
      - .offset:         52
        .size:           4
        .value_kind:     by_value
      - .offset:         56
        .size:           4
        .value_kind:     by_value
      - .offset:         64
        .size:           4
        .value_kind:     hidden_block_count_x
      - .offset:         68
        .size:           4
        .value_kind:     hidden_block_count_y
      - .offset:         72
        .size:           4
        .value_kind:     hidden_block_count_z
      - .offset:         76
        .size:           2
        .value_kind:     hidden_group_size_x
      - .offset:         78
        .size:           2
        .value_kind:     hidden_group_size_y
      - .offset:         80
        .size:           2
        .value_kind:     hidden_group_size_z
      - .offset:         82
        .size:           2
        .value_kind:     hidden_remainder_x
      - .offset:         84
        .size:           2
        .value_kind:     hidden_remainder_y
      - .offset:         86
        .size:           2
        .value_kind:     hidden_remainder_z
      - .offset:         104
        .size:           8
        .value_kind:     hidden_global_offset_x
      - .offset:         112
        .size:           8
        .value_kind:     hidden_global_offset_y
      - .offset:         120
        .size:           8
        .value_kind:     hidden_global_offset_z
      - .offset:         128
        .size:           2
        .value_kind:     hidden_grid_dims
    .group_segment_fixed_size: 68
    .kernarg_segment_align: 8
    .kernarg_segment_size: 320
    .language:       OpenCL C
    .language_version:
      - 2
      - 0
    .max_flat_workgroup_size: 1024
    .name:           _ZN4vllm42fused_add_rms_norm_static_fp8_quant_kernelIN3c104HalfELi0ENS1_13Float8_e4m3fnEEENSt9enable_ifIXooeqT0_Li0Entsr12_typeConvertIT_EE6existsEvE4typeEPT1_PS5_iSA_PKS5_PKffii
    .private_segment_fixed_size: 0
    .sgpr_count:     21
    .sgpr_spill_count: 0
    .symbol:         _ZN4vllm42fused_add_rms_norm_static_fp8_quant_kernelIN3c104HalfELi0ENS1_13Float8_e4m3fnEEENSt9enable_ifIXooeqT0_Li0Entsr12_typeConvertIT_EE6existsEvE4typeEPT1_PS5_iSA_PKS5_PKffii.kd
    .uniform_work_group_size: 1
    .uses_dynamic_stack: false
    .vgpr_count:     12
    .vgpr_spill_count: 0
    .wavefront_size: 32
    .workgroup_processor_mode: 1
  - .args:
      - .actual_access:  read_only
        .address_space:  global
        .offset:         0
        .size:           8
        .value_kind:     global_buffer
      - .actual_access:  read_only
        .address_space:  global
        .offset:         8
        .size:           8
        .value_kind:     global_buffer
      - .offset:         16
        .size:           4
        .value_kind:     by_value
      - .address_space:  global
        .offset:         24
        .size:           8
        .value_kind:     global_buffer
      - .actual_access:  read_only
        .address_space:  global
        .offset:         32
        .size:           8
        .value_kind:     global_buffer
      - .actual_access:  read_only
        .address_space:  global
        .offset:         40
        .size:           8
        .value_kind:     global_buffer
      - .offset:         48
        .size:           4
        .value_kind:     by_value
      - .offset:         52
        .size:           4
        .value_kind:     by_value
      - .offset:         56
        .size:           4
        .value_kind:     by_value
      - .offset:         64
        .size:           4
        .value_kind:     hidden_block_count_x
      - .offset:         68
        .size:           4
        .value_kind:     hidden_block_count_y
      - .offset:         72
        .size:           4
        .value_kind:     hidden_block_count_z
      - .offset:         76
        .size:           2
        .value_kind:     hidden_group_size_x
      - .offset:         78
        .size:           2
        .value_kind:     hidden_group_size_y
      - .offset:         80
        .size:           2
        .value_kind:     hidden_group_size_z
      - .offset:         82
        .size:           2
        .value_kind:     hidden_remainder_x
      - .offset:         84
        .size:           2
        .value_kind:     hidden_remainder_y
      - .offset:         86
        .size:           2
        .value_kind:     hidden_remainder_z
      - .offset:         104
        .size:           8
        .value_kind:     hidden_global_offset_x
      - .offset:         112
        .size:           8
        .value_kind:     hidden_global_offset_y
      - .offset:         120
        .size:           8
        .value_kind:     hidden_global_offset_z
      - .offset:         128
        .size:           2
        .value_kind:     hidden_grid_dims
    .group_segment_fixed_size: 68
    .kernarg_segment_align: 8
    .kernarg_segment_size: 320
    .language:       OpenCL C
    .language_version:
      - 2
      - 0
    .max_flat_workgroup_size: 1024
    .name:           _ZN4vllm42fused_add_rms_norm_static_fp8_quant_kernelIN3c104HalfELi0ENS1_15Float8_e4m3fnuzEEENSt9enable_ifIXooeqT0_Li0Entsr12_typeConvertIT_EE6existsEvE4typeEPT1_PS5_iSA_PKS5_PKffii
    .private_segment_fixed_size: 0
    .sgpr_count:     15
    .sgpr_spill_count: 0
    .symbol:         _ZN4vllm42fused_add_rms_norm_static_fp8_quant_kernelIN3c104HalfELi0ENS1_15Float8_e4m3fnuzEEENSt9enable_ifIXooeqT0_Li0Entsr12_typeConvertIT_EE6existsEvE4typeEPT1_PS5_iSA_PKS5_PKffii.kd
    .uniform_work_group_size: 1
    .uses_dynamic_stack: false
    .vgpr_count:     10
    .vgpr_spill_count: 0
    .wavefront_size: 32
    .workgroup_processor_mode: 1
  - .args:
      - .actual_access:  write_only
        .address_space:  global
        .offset:         0
        .size:           8
        .value_kind:     global_buffer
      - .actual_access:  read_only
        .address_space:  global
        .offset:         8
        .size:           8
        .value_kind:     global_buffer
      - .offset:         16
        .size:           4
        .value_kind:     by_value
      - .address_space:  global
        .offset:         24
        .size:           8
        .value_kind:     global_buffer
      - .actual_access:  read_only
        .address_space:  global
        .offset:         32
        .size:           8
        .value_kind:     global_buffer
      - .actual_access:  read_only
        .address_space:  global
        .offset:         40
        .size:           8
        .value_kind:     global_buffer
      - .offset:         48
        .size:           4
        .value_kind:     by_value
      - .offset:         52
        .size:           4
        .value_kind:     by_value
      - .offset:         56
        .size:           4
        .value_kind:     by_value
      - .offset:         64
        .size:           4
        .value_kind:     hidden_block_count_x
      - .offset:         68
        .size:           4
        .value_kind:     hidden_block_count_y
      - .offset:         72
        .size:           4
        .value_kind:     hidden_block_count_z
      - .offset:         76
        .size:           2
        .value_kind:     hidden_group_size_x
      - .offset:         78
        .size:           2
        .value_kind:     hidden_group_size_y
      - .offset:         80
        .size:           2
        .value_kind:     hidden_group_size_z
      - .offset:         82
        .size:           2
        .value_kind:     hidden_remainder_x
      - .offset:         84
        .size:           2
        .value_kind:     hidden_remainder_y
      - .offset:         86
        .size:           2
        .value_kind:     hidden_remainder_z
      - .offset:         104
        .size:           8
        .value_kind:     hidden_global_offset_x
      - .offset:         112
        .size:           8
        .value_kind:     hidden_global_offset_y
      - .offset:         120
        .size:           8
        .value_kind:     hidden_global_offset_z
      - .offset:         128
        .size:           2
        .value_kind:     hidden_grid_dims
    .group_segment_fixed_size: 68
    .kernarg_segment_align: 8
    .kernarg_segment_size: 320
    .language:       OpenCL C
    .language_version:
      - 2
      - 0
    .max_flat_workgroup_size: 1024
    .name:           _ZN4vllm42fused_add_rms_norm_static_fp8_quant_kernelIN3c108BFloat16ELi0ENS1_13Float8_e4m3fnEEENSt9enable_ifIXooeqT0_Li0Entsr12_typeConvertIT_EE6existsEvE4typeEPT1_PS5_iSA_PKS5_PKffii
    .private_segment_fixed_size: 0
    .sgpr_count:     21
    .sgpr_spill_count: 0
    .symbol:         _ZN4vllm42fused_add_rms_norm_static_fp8_quant_kernelIN3c108BFloat16ELi0ENS1_13Float8_e4m3fnEEENSt9enable_ifIXooeqT0_Li0Entsr12_typeConvertIT_EE6existsEvE4typeEPT1_PS5_iSA_PKS5_PKffii.kd
    .uniform_work_group_size: 1
    .uses_dynamic_stack: false
    .vgpr_count:     12
    .vgpr_spill_count: 0
    .wavefront_size: 32
    .workgroup_processor_mode: 1
  - .args:
      - .actual_access:  read_only
        .address_space:  global
        .offset:         0
        .size:           8
        .value_kind:     global_buffer
      - .actual_access:  read_only
        .address_space:  global
        .offset:         8
        .size:           8
        .value_kind:     global_buffer
      - .offset:         16
        .size:           4
        .value_kind:     by_value
      - .address_space:  global
        .offset:         24
        .size:           8
        .value_kind:     global_buffer
      - .actual_access:  read_only
        .address_space:  global
        .offset:         32
        .size:           8
        .value_kind:     global_buffer
      - .actual_access:  read_only
        .address_space:  global
        .offset:         40
        .size:           8
        .value_kind:     global_buffer
      - .offset:         48
        .size:           4
        .value_kind:     by_value
      - .offset:         52
        .size:           4
        .value_kind:     by_value
      - .offset:         56
        .size:           4
        .value_kind:     by_value
      - .offset:         64
        .size:           4
        .value_kind:     hidden_block_count_x
      - .offset:         68
        .size:           4
        .value_kind:     hidden_block_count_y
      - .offset:         72
        .size:           4
        .value_kind:     hidden_block_count_z
      - .offset:         76
        .size:           2
        .value_kind:     hidden_group_size_x
      - .offset:         78
        .size:           2
        .value_kind:     hidden_group_size_y
      - .offset:         80
        .size:           2
        .value_kind:     hidden_group_size_z
      - .offset:         82
        .size:           2
        .value_kind:     hidden_remainder_x
      - .offset:         84
        .size:           2
        .value_kind:     hidden_remainder_y
      - .offset:         86
        .size:           2
        .value_kind:     hidden_remainder_z
      - .offset:         104
        .size:           8
        .value_kind:     hidden_global_offset_x
      - .offset:         112
        .size:           8
        .value_kind:     hidden_global_offset_y
      - .offset:         120
        .size:           8
        .value_kind:     hidden_global_offset_z
      - .offset:         128
        .size:           2
        .value_kind:     hidden_grid_dims
    .group_segment_fixed_size: 68
    .kernarg_segment_align: 8
    .kernarg_segment_size: 320
    .language:       OpenCL C
    .language_version:
      - 2
      - 0
    .max_flat_workgroup_size: 1024
    .name:           _ZN4vllm42fused_add_rms_norm_static_fp8_quant_kernelIN3c108BFloat16ELi0ENS1_15Float8_e4m3fnuzEEENSt9enable_ifIXooeqT0_Li0Entsr12_typeConvertIT_EE6existsEvE4typeEPT1_PS5_iSA_PKS5_PKffii
    .private_segment_fixed_size: 0
    .sgpr_count:     15
    .sgpr_spill_count: 0
    .symbol:         _ZN4vllm42fused_add_rms_norm_static_fp8_quant_kernelIN3c108BFloat16ELi0ENS1_15Float8_e4m3fnuzEEENSt9enable_ifIXooeqT0_Li0Entsr12_typeConvertIT_EE6existsEvE4typeEPT1_PS5_iSA_PKS5_PKffii.kd
    .uniform_work_group_size: 1
    .uses_dynamic_stack: false
    .vgpr_count:     10
    .vgpr_spill_count: 0
    .wavefront_size: 32
    .workgroup_processor_mode: 1
amdhsa.target:   amdgcn-amd-amdhsa--gfx1201
amdhsa.version:
  - 1
  - 2
...

	.end_amdgpu_metadata
